;; amdgpu-corpus repo=ROCm/rocFFT kind=compiled arch=gfx1201 opt=O3
	.text
	.amdgcn_target "amdgcn-amd-amdhsa--gfx1201"
	.amdhsa_code_object_version 6
	.protected	bluestein_single_fwd_len810_dim1_dp_op_CI_CI ; -- Begin function bluestein_single_fwd_len810_dim1_dp_op_CI_CI
	.globl	bluestein_single_fwd_len810_dim1_dp_op_CI_CI
	.p2align	8
	.type	bluestein_single_fwd_len810_dim1_dp_op_CI_CI,@function
bluestein_single_fwd_len810_dim1_dp_op_CI_CI: ; @bluestein_single_fwd_len810_dim1_dp_op_CI_CI
; %bb.0:
	s_load_b128 s[8:11], s[0:1], 0x28
	v_mul_u32_u24_e32 v1, 0x32a, v0
	s_mov_b32 s2, exec_lo
	v_mov_b32_e32 v217, 0
	s_delay_alu instid0(VALU_DEP_2) | instskip(NEXT) | instid1(VALU_DEP_1)
	v_lshrrev_b32_e32 v1, 16, v1
	v_add_nc_u32_e32 v216, ttmp9, v1
	s_wait_kmcnt 0x0
	s_delay_alu instid0(VALU_DEP_1)
	v_cmpx_gt_u64_e64 s[8:9], v[216:217]
	s_cbranch_execz .LBB0_39
; %bb.1:
	s_clause 0x1
	s_load_b128 s[4:7], s[0:1], 0x18
	s_load_b64 s[16:17], s[0:1], 0x0
	v_mul_lo_u16 v1, 0x51, v1
	s_movk_i32 s2, 0xfe35
	s_mov_b32 s3, -1
	s_delay_alu instid0(VALU_DEP_1) | instskip(NEXT) | instid1(VALU_DEP_1)
	v_sub_nc_u16 v110, v0, v1
	v_and_b32_e32 v220, 0xffff, v110
	s_wait_kmcnt 0x0
	s_load_b128 s[12:15], s[4:5], 0x0
	s_wait_kmcnt 0x0
	v_mad_co_u64_u32 v[8:9], null, s14, v216, 0
	v_mad_co_u64_u32 v[20:21], null, s12, v220, 0
	s_mul_u64 s[4:5], s[12:13], 0x10e
	s_mul_u64 s[2:3], s[12:13], s[2:3]
	s_delay_alu instid0(SALU_CYCLE_1) | instskip(NEXT) | instid1(VALU_DEP_1)
	s_lshl_b64 s[2:3], s[2:3], 4
	v_dual_mov_b32 v1, v21 :: v_dual_mov_b32 v0, v9
	v_lshlrev_b32_e32 v219, 4, v220
	s_delay_alu instid0(VALU_DEP_2) | instskip(NEXT) | instid1(VALU_DEP_2)
	v_mad_co_u64_u32 v[2:3], null, s15, v216, v[0:1]
	v_add_co_u32 v217, s12, s16, v219
	s_wait_alu 0xf1ff
	v_add_co_ci_u32_e64 v218, null, s17, 0, s12
	s_delay_alu instid0(VALU_DEP_3)
	v_mad_co_u64_u32 v[10:11], null, s13, v220, v[1:2]
	v_mov_b32_e32 v9, v2
	s_clause 0x1
	global_load_b128 v[0:3], v219, s[16:17]
	global_load_b128 v[4:7], v219, s[16:17] offset:1296
	v_lshlrev_b64_e32 v[22:23], 4, v[8:9]
	v_mov_b32_e32 v21, v10
	s_clause 0x2
	global_load_b128 v[8:11], v219, s[16:17] offset:5616
	global_load_b128 v[12:15], v219, s[16:17] offset:8640
	;; [unrolled: 1-line block ×3, first 2 shown]
	v_lshlrev_b64_e32 v[20:21], 4, v[20:21]
	v_add_co_u32 v22, vcc_lo, s10, v22
	v_add_co_ci_u32_e32 v23, vcc_lo, s11, v23, vcc_lo
	s_lshl_b64 s[10:11], s[4:5], 4
	s_delay_alu instid0(VALU_DEP_2) | instskip(SKIP_1) | instid1(VALU_DEP_2)
	v_add_co_u32 v28, vcc_lo, v22, v20
	s_wait_alu 0xfffd
	v_add_co_ci_u32_e32 v29, vcc_lo, v23, v21, vcc_lo
	s_clause 0x1
	global_load_b128 v[20:23], v219, s[16:17] offset:4320
	global_load_b128 v[24:27], v219, s[16:17] offset:2592
	s_wait_alu 0xfffe
	v_add_co_u32 v30, vcc_lo, v28, s10
	s_wait_alu 0xfffd
	v_add_co_ci_u32_e32 v31, vcc_lo, s11, v29, vcc_lo
	s_clause 0x1
	global_load_b128 v[38:41], v[28:29], off
	global_load_b128 v[42:45], v[30:31], off
	v_add_co_u32 v32, vcc_lo, v30, s10
	s_wait_alu 0xfffd
	v_add_co_ci_u32_e32 v33, vcc_lo, s11, v31, vcc_lo
	s_delay_alu instid0(VALU_DEP_2) | instskip(SKIP_1) | instid1(VALU_DEP_2)
	v_add_co_u32 v34, vcc_lo, v32, s2
	s_wait_alu 0xfffd
	v_add_co_ci_u32_e32 v35, vcc_lo, s3, v33, vcc_lo
	s_clause 0x1
	global_load_b128 v[46:49], v[32:33], off
	global_load_b128 v[50:53], v[34:35], off
	v_add_co_u32 v36, vcc_lo, v34, s10
	s_wait_alu 0xfffd
	v_add_co_ci_u32_e32 v37, vcc_lo, s11, v35, vcc_lo
	s_delay_alu instid0(VALU_DEP_2) | instskip(SKIP_1) | instid1(VALU_DEP_2)
	v_add_co_u32 v28, vcc_lo, v36, s10
	s_wait_alu 0xfffd
	v_add_co_ci_u32_e32 v29, vcc_lo, s11, v37, vcc_lo
	global_load_b128 v[54:57], v[36:37], off
	v_add_co_u32 v30, vcc_lo, v28, s2
	s_wait_alu 0xfffd
	v_add_co_ci_u32_e32 v31, vcc_lo, s3, v29, vcc_lo
	global_load_b128 v[58:61], v[28:29], off
	v_add_co_u32 v32, vcc_lo, v30, s10
	s_wait_alu 0xfffd
	v_add_co_ci_u32_e32 v33, vcc_lo, s11, v31, vcc_lo
	s_delay_alu instid0(VALU_DEP_2) | instskip(SKIP_1) | instid1(VALU_DEP_2)
	v_add_co_u32 v36, vcc_lo, v32, s10
	s_wait_alu 0xfffd
	v_add_co_ci_u32_e32 v37, vcc_lo, s11, v33, vcc_lo
	global_load_b128 v[62:65], v[30:31], off
	global_load_b128 v[28:31], v219, s[16:17] offset:6912
	global_load_b128 v[66:69], v[32:33], off
	global_load_b128 v[32:35], v219, s[16:17] offset:11232
	global_load_b128 v[70:73], v[36:37], off
	s_load_b64 s[8:9], s[0:1], 0x38
	s_load_b128 s[4:7], s[6:7], 0x0
	v_cmp_gt_u16_e32 vcc_lo, 27, v110
	s_wait_loadcnt 0xa
	v_mul_f64_e32 v[74:75], v[40:41], v[2:3]
	v_mul_f64_e32 v[76:77], v[38:39], v[2:3]
	s_wait_loadcnt 0x9
	v_mul_f64_e32 v[78:79], v[44:45], v[22:23]
	v_mul_f64_e32 v[80:81], v[42:43], v[22:23]
	s_wait_loadcnt 0x8
	v_mul_f64_e32 v[82:83], v[48:49], v[14:15]
	s_wait_loadcnt 0x7
	v_mul_f64_e32 v[86:87], v[52:53], v[6:7]
	v_mul_f64_e32 v[88:89], v[50:51], v[6:7]
	;; [unrolled: 1-line block ×3, first 2 shown]
	s_wait_loadcnt 0x6
	v_mul_f64_e32 v[90:91], v[56:57], v[10:11]
	v_mul_f64_e32 v[92:93], v[54:55], v[10:11]
	s_wait_loadcnt 0x5
	v_mul_f64_e32 v[94:95], v[60:61], v[18:19]
	v_mul_f64_e32 v[96:97], v[58:59], v[18:19]
	;; [unrolled: 3-line block ×5, first 2 shown]
	v_fma_f64 v[38:39], v[38:39], v[0:1], v[74:75]
	v_fma_f64 v[40:41], v[40:41], v[0:1], -v[76:77]
	v_fma_f64 v[42:43], v[42:43], v[20:21], v[78:79]
	v_fma_f64 v[44:45], v[44:45], v[20:21], -v[80:81]
	v_fma_f64 v[46:47], v[46:47], v[12:13], v[82:83]
	v_fma_f64 v[50:51], v[50:51], v[4:5], v[86:87]
	v_fma_f64 v[52:53], v[52:53], v[4:5], -v[88:89]
	v_fma_f64 v[48:49], v[48:49], v[12:13], -v[84:85]
	v_fma_f64 v[54:55], v[54:55], v[8:9], v[90:91]
	v_fma_f64 v[56:57], v[56:57], v[8:9], -v[92:93]
	v_fma_f64 v[58:59], v[58:59], v[16:17], v[94:95]
	v_fma_f64 v[60:61], v[60:61], v[16:17], -v[96:97]
	ds_store_b128 v219, v[38:41]
	ds_store_b128 v219, v[50:53] offset:1296
	ds_store_b128 v219, v[46:49] offset:8640
	;; [unrolled: 1-line block ×3, first 2 shown]
	v_fma_f64 v[62:63], v[62:63], v[24:25], v[98:99]
	v_fma_f64 v[64:65], v[64:65], v[24:25], -v[100:101]
	v_fma_f64 v[66:67], v[66:67], v[28:29], v[102:103]
	v_fma_f64 v[68:69], v[68:69], v[28:29], -v[104:105]
	;; [unrolled: 2-line block ×3, first 2 shown]
	ds_store_b128 v219, v[42:45] offset:4320
	ds_store_b128 v219, v[62:65] offset:2592
	;; [unrolled: 1-line block ×5, first 2 shown]
	s_and_saveexec_b32 s12, vcc_lo
	s_cbranch_execz .LBB0_3
; %bb.2:
	v_add_co_u32 v36, s2, v36, s2
	s_wait_alu 0xf1ff
	v_add_co_ci_u32_e64 v37, s2, s3, v37, s2
	s_delay_alu instid0(VALU_DEP_2) | instskip(SKIP_1) | instid1(VALU_DEP_2)
	v_add_co_u32 v44, s2, v36, s10
	s_wait_alu 0xf1ff
	v_add_co_ci_u32_e64 v45, s2, s11, v37, s2
	global_load_b128 v[36:39], v[36:37], off
	v_add_co_u32 v56, s2, v44, s10
	s_wait_alu 0xf1ff
	v_add_co_ci_u32_e64 v57, s2, s11, v45, s2
	global_load_b128 v[40:43], v[217:218], off offset:3888
	global_load_b128 v[44:47], v[44:45], off
	s_clause 0x1
	global_load_b128 v[48:51], v[217:218], off offset:8208
	global_load_b128 v[52:55], v[217:218], off offset:12528
	global_load_b128 v[56:59], v[56:57], off
	s_wait_loadcnt 0x4
	v_mul_f64_e32 v[60:61], v[38:39], v[42:43]
	v_mul_f64_e32 v[42:43], v[36:37], v[42:43]
	s_wait_loadcnt 0x2
	v_mul_f64_e32 v[62:63], v[46:47], v[50:51]
	v_mul_f64_e32 v[50:51], v[44:45], v[50:51]
	;; [unrolled: 3-line block ×3, first 2 shown]
	v_fma_f64 v[36:37], v[36:37], v[40:41], v[60:61]
	v_fma_f64 v[38:39], v[38:39], v[40:41], -v[42:43]
	v_fma_f64 v[40:41], v[44:45], v[48:49], v[62:63]
	v_fma_f64 v[42:43], v[46:47], v[48:49], -v[50:51]
	;; [unrolled: 2-line block ×3, first 2 shown]
	ds_store_b128 v219, v[36:39] offset:3888
	ds_store_b128 v219, v[40:43] offset:8208
	;; [unrolled: 1-line block ×3, first 2 shown]
.LBB0_3:
	s_wait_alu 0xfffe
	s_or_b32 exec_lo, exec_lo, s12
	global_wb scope:SCOPE_SE
	s_wait_dscnt 0x0
	s_wait_kmcnt 0x0
	s_barrier_signal -1
	s_barrier_wait -1
	global_inv scope:SCOPE_SE
	ds_load_b128 v[64:67], v219
	ds_load_b128 v[60:63], v219 offset:1296
	ds_load_b128 v[48:51], v219 offset:8640
	;; [unrolled: 1-line block ×8, first 2 shown]
                                        ; implicit-def: $vgpr36_vgpr37
                                        ; implicit-def: $vgpr40_vgpr41
                                        ; implicit-def: $vgpr44_vgpr45
	s_and_saveexec_b32 s2, vcc_lo
	s_cbranch_execz .LBB0_5
; %bb.4:
	ds_load_b128 v[36:39], v219 offset:3888
	ds_load_b128 v[40:43], v219 offset:8208
	;; [unrolled: 1-line block ×3, first 2 shown]
.LBB0_5:
	s_wait_alu 0xfffe
	s_or_b32 exec_lo, exec_lo, s2
	s_wait_dscnt 0x0
	v_add_f64_e32 v[96:97], v[40:41], v[44:45]
	v_add_f64_e32 v[98:99], v[42:43], v[46:47]
	;; [unrolled: 1-line block ×9, first 2 shown]
	v_add_f64_e64 v[102:103], v[82:83], -v[50:51]
	v_add_f64_e32 v[82:83], v[66:67], v[82:83]
	v_add_f64_e32 v[104:105], v[60:61], v[76:77]
	;; [unrolled: 1-line block ×5, first 2 shown]
	v_add_f64_e64 v[112:113], v[42:43], -v[46:47]
	v_add_f64_e64 v[114:115], v[40:41], -v[44:45]
	;; [unrolled: 1-line block ×5, first 2 shown]
	s_mov_b32 s2, 0xe8584caa
	s_mov_b32 s3, 0x3febb67a
	s_mov_b32 s11, 0xbfebb67a
	s_wait_alu 0xfffe
	s_mov_b32 s10, s2
	global_wb scope:SCOPE_SE
	s_barrier_signal -1
	s_barrier_wait -1
	global_inv scope:SCOPE_SE
	v_fma_f64 v[96:97], v[96:97], -0.5, v[36:37]
	v_fma_f64 v[98:99], v[98:99], -0.5, v[38:39]
	;; [unrolled: 1-line block ×6, first 2 shown]
	v_add_f64_e64 v[88:89], v[74:75], -v[58:59]
	v_fma_f64 v[90:91], v[92:93], -0.5, v[68:69]
	v_add_f64_e64 v[92:93], v[72:73], -v[56:57]
	v_fma_f64 v[94:95], v[94:95], -0.5, v[70:71]
	v_add_f64_e32 v[48:49], v[100:101], v[48:49]
	v_add_f64_e32 v[50:51], v[82:83], v[50:51]
	;; [unrolled: 1-line block ×6, first 2 shown]
	v_fma_f64 v[104:105], v[112:113], s[2:3], v[96:97]
	s_wait_alu 0xfffe
	v_fma_f64 v[108:109], v[112:113], s[10:11], v[96:97]
	v_fma_f64 v[106:107], v[114:115], s[10:11], v[98:99]
	;; [unrolled: 1-line block ×15, first 2 shown]
	s_load_b64 s[2:3], s[0:1], 0x8
	v_add_co_u32 v195, s0, 0x51, v220
	s_wait_alu 0xf1ff
	v_add_co_ci_u32_e64 v184, null, 0, 0, s0
	v_add_co_u32 v194, s0, 0xa2, v220
	s_wait_alu 0xf1ff
	v_add_co_ci_u32_e64 v84, null, 0, 0, s0
	v_mul_lo_u16 v84, v220, 3
	v_add_co_u32 v192, s0, 0xf3, v220
	v_mul_u32_u24_e32 v85, 3, v195
	v_mul_u32_u24_e32 v86, 3, v194
	s_delay_alu instid0(VALU_DEP_4)
	v_and_b32_e32 v84, 0xffff, v84
	s_wait_alu 0xf1ff
	v_add_co_ci_u32_e64 v193, null, 0, 0, s0
	v_mul_u32_u24_e32 v221, 3, v192
	v_lshlrev_b32_e32 v223, 4, v85
	v_lshlrev_b32_e32 v224, 4, v84
	;; [unrolled: 1-line block ×3, first 2 shown]
	ds_store_b128 v224, v[48:51]
	ds_store_b128 v224, v[60:63] offset:16
	ds_store_b128 v224, v[64:67] offset:32
	ds_store_b128 v223, v[52:55]
	ds_store_b128 v223, v[68:71] offset:16
	ds_store_b128 v223, v[72:75] offset:32
	ds_store_b128 v222, v[56:59]
	ds_store_b128 v222, v[76:79] offset:16
	ds_store_b128 v222, v[80:83] offset:32
	s_and_saveexec_b32 s0, vcc_lo
	s_cbranch_execz .LBB0_7
; %bb.6:
	v_add_f64_e32 v[38:39], v[38:39], v[42:43]
	v_add_f64_e32 v[36:37], v[36:37], v[40:41]
	v_lshlrev_b32_e32 v40, 4, v221
	s_delay_alu instid0(VALU_DEP_3) | instskip(NEXT) | instid1(VALU_DEP_3)
	v_add_f64_e32 v[38:39], v[38:39], v[46:47]
	v_add_f64_e32 v[36:37], v[36:37], v[44:45]
	ds_store_b128 v40, v[36:39]
	ds_store_b128 v40, v[104:107] offset:16
	ds_store_b128 v40, v[108:111] offset:32
.LBB0_7:
	s_wait_alu 0xfffe
	s_or_b32 exec_lo, exec_lo, s0
	v_and_b32_e32 v72, 0xff, v220
	global_wb scope:SCOPE_SE
	s_wait_dscnt 0x0
	s_wait_kmcnt 0x0
	s_barrier_signal -1
	s_barrier_wait -1
	global_inv scope:SCOPE_SE
	v_mul_lo_u16 v36, 0xab, v72
	s_mov_b32 s10, 0x134454ff
	s_mov_b32 s11, 0x3fee6f0e
	s_mov_b32 s1, 0xbfee6f0e
	s_wait_alu 0xfffe
	s_mov_b32 s0, s10
	v_lshrrev_b16 v73, 9, v36
	s_mov_b32 s14, 0x4755a5e
	s_mov_b32 s15, 0x3fe2cf23
	;; [unrolled: 1-line block ×3, first 2 shown]
	s_wait_alu 0xfffe
	s_mov_b32 s12, s14
	v_mul_lo_u16 v36, v73, 3
	s_mov_b32 s18, 0x372fe950
	s_mov_b32 s19, 0x3fd3c6ef
	;; [unrolled: 1-line block ×4, first 2 shown]
	v_sub_nc_u16 v36, v220, v36
	v_and_b32_e32 v73, 0xffff, v73
	s_delay_alu instid0(VALU_DEP_2) | instskip(NEXT) | instid1(VALU_DEP_2)
	v_and_b32_e32 v74, 0xff, v36
	v_mul_u32_u24_e32 v73, 30, v73
	s_delay_alu instid0(VALU_DEP_2) | instskip(NEXT) | instid1(VALU_DEP_2)
	v_mad_co_u64_u32 v[40:41], null, 0x90, v74, s[2:3]
	v_add_lshl_u32 v225, v73, v74, 4
	s_clause 0x8
	global_load_b128 v[56:59], v[40:41], off offset:32
	global_load_b128 v[64:67], v[40:41], off offset:64
	;; [unrolled: 1-line block ×4, first 2 shown]
	global_load_b128 v[36:39], v[40:41], off
	global_load_b128 v[52:55], v[40:41], off offset:16
	global_load_b128 v[48:51], v[40:41], off offset:48
	;; [unrolled: 1-line block ×4, first 2 shown]
	ds_load_b128 v[75:78], v219 offset:3888
	ds_load_b128 v[79:82], v219 offset:6480
	;; [unrolled: 1-line block ×6, first 2 shown]
	s_wait_loadcnt_dscnt 0x805
	v_mul_f64_e32 v[101:102], v[75:76], v[58:59]
	s_wait_loadcnt_dscnt 0x704
	v_mul_f64_e32 v[112:113], v[81:82], v[66:67]
	v_mul_f64_e32 v[114:115], v[79:80], v[66:67]
	s_wait_loadcnt_dscnt 0x603
	v_mul_f64_e32 v[116:117], v[83:84], v[62:63]
	s_wait_loadcnt_dscnt 0x502
	v_mul_f64_e32 v[118:119], v[87:88], v[70:71]
	v_mul_f64_e32 v[122:123], v[85:86], v[62:63]
	;; [unrolled: 1-line block ×4, first 2 shown]
	s_wait_loadcnt_dscnt 0x401
	v_mul_f64_e32 v[124:125], v[93:94], v[38:39]
	v_mul_f64_e32 v[126:127], v[91:92], v[38:39]
	v_fma_f64 v[101:102], v[77:78], v[56:57], v[101:102]
	v_fma_f64 v[112:113], v[79:80], v[64:65], -v[112:113]
	v_fma_f64 v[114:115], v[81:82], v[64:65], v[114:115]
	v_fma_f64 v[116:117], v[85:86], v[60:61], v[116:117]
	;; [unrolled: 1-line block ×3, first 2 shown]
	v_fma_f64 v[118:119], v[83:84], v[60:61], -v[122:123]
	v_fma_f64 v[99:100], v[75:76], v[56:57], -v[99:100]
	;; [unrolled: 1-line block ×3, first 2 shown]
	ds_load_b128 v[75:78], v219 offset:5184
	ds_load_b128 v[79:82], v219 offset:7776
	;; [unrolled: 1-line block ×3, first 2 shown]
	s_wait_loadcnt_dscnt 0x303
	v_mul_f64_e32 v[120:121], v[97:98], v[54:55]
	v_mul_f64_e32 v[122:123], v[95:96], v[54:55]
	v_fma_f64 v[91:92], v[91:92], v[36:37], -v[124:125]
	v_fma_f64 v[93:94], v[93:94], v[36:37], v[126:127]
	s_wait_loadcnt_dscnt 0x202
	v_mul_f64_e32 v[128:129], v[77:78], v[50:51]
	v_mul_f64_e32 v[130:131], v[75:76], v[50:51]
	s_wait_loadcnt_dscnt 0x101
	v_mul_f64_e32 v[132:133], v[81:82], v[46:47]
	s_wait_loadcnt_dscnt 0x0
	v_mul_f64_e32 v[134:135], v[85:86], v[42:43]
	v_mul_f64_e32 v[136:137], v[79:80], v[46:47]
	;; [unrolled: 1-line block ×3, first 2 shown]
	v_add_f64_e64 v[156:157], v[101:102], -v[114:115]
	v_add_f64_e32 v[124:125], v[114:115], v[116:117]
	v_add_f64_e32 v[126:127], v[101:102], v[89:90]
	;; [unrolled: 1-line block ×3, first 2 shown]
	v_add_f64_e64 v[148:149], v[99:100], -v[112:113]
	v_add_f64_e32 v[140:141], v[99:100], v[87:88]
	v_add_f64_e64 v[150:151], v[87:88], -v[118:119]
	v_fma_f64 v[95:96], v[95:96], v[52:53], -v[120:121]
	v_fma_f64 v[97:98], v[97:98], v[52:53], v[122:123]
	v_add_f64_e64 v[152:153], v[112:113], -v[99:100]
	v_add_f64_e64 v[154:155], v[118:119], -v[87:88]
	;; [unrolled: 1-line block ×5, first 2 shown]
	v_fma_f64 v[120:121], v[75:76], v[48:49], -v[128:129]
	v_fma_f64 v[122:123], v[77:78], v[48:49], v[130:131]
	v_fma_f64 v[79:80], v[79:80], v[44:45], -v[132:133]
	v_fma_f64 v[83:84], v[83:84], v[40:41], -v[134:135]
	v_fma_f64 v[81:82], v[81:82], v[44:45], v[136:137]
	v_fma_f64 v[85:86], v[85:86], v[40:41], v[138:139]
	v_add_f64_e64 v[128:129], v[101:102], -v[89:90]
	v_add_f64_e64 v[132:133], v[99:100], -v[87:88]
	;; [unrolled: 1-line block ×4, first 2 shown]
	ds_load_b128 v[75:78], v219
	global_wb scope:SCOPE_SE
	s_wait_dscnt 0x0
	s_barrier_signal -1
	s_barrier_wait -1
	global_inv scope:SCOPE_SE
	v_fma_f64 v[124:125], v[124:125], -0.5, v[93:94]
	v_fma_f64 v[126:127], v[126:127], -0.5, v[93:94]
	;; [unrolled: 1-line block ×3, first 2 shown]
	v_add_f64_e32 v[93:94], v[93:94], v[101:102]
	v_fma_f64 v[136:137], v[140:141], -0.5, v[91:92]
	v_add_f64_e32 v[91:92], v[91:92], v[99:100]
	v_add_f64_e32 v[172:173], v[75:76], v[95:96]
	;; [unrolled: 1-line block ×7, first 2 shown]
	v_add_f64_e64 v[174:175], v[97:98], -v[85:86]
	v_add_f64_e64 v[180:181], v[95:96], -v[83:84]
	;; [unrolled: 1-line block ×4, first 2 shown]
	v_fma_f64 v[164:165], v[132:133], s[0:1], v[124:125]
	v_fma_f64 v[166:167], v[134:135], s[10:11], v[126:127]
	v_fma_f64 v[170:171], v[128:129], s[0:1], v[138:139]
	v_fma_f64 v[138:139], v[128:129], s[10:11], v[138:139]
	v_fma_f64 v[168:169], v[130:131], s[10:11], v[136:137]
	v_fma_f64 v[136:137], v[130:131], s[0:1], v[136:137]
	v_fma_f64 v[126:127], v[134:135], s[0:1], v[126:127]
	v_fma_f64 v[124:125], v[132:133], s[10:11], v[124:125]
	v_add_f64_e32 v[91:92], v[91:92], v[112:113]
	v_add_f64_e32 v[93:94], v[93:94], v[114:115]
	v_fma_f64 v[99:100], v[140:141], -0.5, v[75:76]
	v_fma_f64 v[75:76], v[142:143], -0.5, v[75:76]
	;; [unrolled: 1-line block ×4, first 2 shown]
	v_add_f64_e32 v[140:141], v[148:149], v[150:151]
	v_add_f64_e32 v[142:143], v[152:153], v[154:155]
	;; [unrolled: 1-line block ×4, first 2 shown]
	v_add_f64_e64 v[156:157], v[85:86], -v[81:82]
	v_add_f64_e64 v[158:159], v[81:82], -v[85:86]
	s_wait_alu 0xfffe
	v_fma_f64 v[148:149], v[134:135], s[12:13], v[164:165]
	v_fma_f64 v[150:151], v[132:133], s[12:13], v[166:167]
	;; [unrolled: 1-line block ×8, first 2 shown]
	v_add_f64_e64 v[132:133], v[95:96], -v[120:121]
	v_add_f64_e64 v[95:96], v[120:121], -v[95:96]
	;; [unrolled: 1-line block ×4, first 2 shown]
	v_add_f64_e32 v[120:121], v[172:173], v[120:121]
	v_add_f64_e32 v[122:123], v[178:179], v[122:123]
	v_add_f64_e64 v[134:135], v[83:84], -v[79:80]
	v_add_f64_e64 v[136:137], v[79:80], -v[83:84]
	v_add_f64_e32 v[91:92], v[91:92], v[118:119]
	v_add_f64_e32 v[93:94], v[93:94], v[116:117]
	v_fma_f64 v[112:113], v[174:175], s[10:11], v[99:100]
	v_fma_f64 v[99:100], v[174:175], s[0:1], v[99:100]
	;; [unrolled: 1-line block ×16, first 2 shown]
	v_add_f64_e32 v[97:98], v[97:98], v[158:159]
	v_add_f64_e32 v[79:80], v[120:121], v[79:80]
	;; [unrolled: 1-line block ×6, first 2 shown]
	v_fma_f64 v[112:113], v[176:177], s[14:15], v[112:113]
	v_fma_f64 v[99:100], v[176:177], s[12:13], v[99:100]
	;; [unrolled: 1-line block ×8, first 2 shown]
	v_mul_f64_e32 v[120:121], s[14:15], v[148:149]
	v_mul_f64_e32 v[122:123], s[10:11], v[150:151]
	;; [unrolled: 1-line block ×8, first 2 shown]
	v_add_f64_e32 v[79:80], v[79:80], v[83:84]
	v_add_f64_e32 v[81:82], v[81:82], v[85:86]
	;; [unrolled: 1-line block ×4, first 2 shown]
	v_fma_f64 v[112:113], v[132:133], s[18:19], v[112:113]
	v_fma_f64 v[132:133], v[132:133], s[18:19], v[99:100]
	;; [unrolled: 1-line block ×10, first 2 shown]
	v_fma_f64 v[122:123], v[124:125], s[14:15], -v[138:139]
	v_fma_f64 v[124:125], v[148:149], s[20:21], v[140:141]
	v_fma_f64 v[120:121], v[126:127], s[10:11], -v[136:137]
	v_fma_f64 v[126:127], v[150:151], s[18:19], v[142:143]
	v_fma_f64 v[128:129], v[152:153], s[0:1], -v[144:145]
	v_fma_f64 v[130:131], v[154:155], s[12:13], -v[146:147]
	v_add_f64_e32 v[75:76], v[79:80], v[83:84]
	v_add_f64_e32 v[77:78], v[81:82], v[85:86]
	v_add_f64_e64 v[79:80], v[79:80], -v[83:84]
	v_add_f64_e64 v[81:82], v[81:82], -v[85:86]
	v_add_f64_e32 v[83:84], v[112:113], v[99:100]
	v_add_f64_e32 v[87:88], v[114:115], v[101:102]
	;; [unrolled: 1-line block ×8, first 2 shown]
	v_add_f64_e64 v[99:100], v[112:113], -v[99:100]
	v_add_f64_e64 v[116:117], v[114:115], -v[101:102]
	;; [unrolled: 1-line block ×8, first 2 shown]
	ds_store_b128 v225, v[75:78]
	ds_store_b128 v225, v[83:86] offset:48
	ds_store_b128 v225, v[87:90] offset:96
	;; [unrolled: 1-line block ×9, first 2 shown]
	global_wb scope:SCOPE_SE
	s_wait_dscnt 0x0
	s_barrier_signal -1
	s_barrier_wait -1
	global_inv scope:SCOPE_SE
	ds_load_b128 v[120:123], v219
	ds_load_b128 v[116:119], v219 offset:1296
	ds_load_b128 v[140:143], v219 offset:8640
	ds_load_b128 v[128:131], v219 offset:9936
	ds_load_b128 v[148:151], v219 offset:4320
	ds_load_b128 v[124:127], v219 offset:2592
	ds_load_b128 v[144:147], v219 offset:5616
	ds_load_b128 v[132:135], v219 offset:6912
	ds_load_b128 v[136:139], v219 offset:11232
	s_and_saveexec_b32 s0, vcc_lo
	s_cbranch_execz .LBB0_9
; %bb.8:
	ds_load_b128 v[112:115], v219 offset:3888
	ds_load_b128 v[104:107], v219 offset:8208
	;; [unrolled: 1-line block ×3, first 2 shown]
.LBB0_9:
	s_wait_alu 0xfffe
	s_or_b32 exec_lo, exec_lo, s0
	v_mul_lo_u16 v72, 0x89, v72
	v_and_b32_e32 v186, 0xffff, v192
	v_and_b32_e32 v73, 0xff, v195
	;; [unrolled: 1-line block ×3, first 2 shown]
	s_mov_b32 s11, 0xbfebb67a
	v_lshrrev_b16 v191, 12, v72
	v_mul_u32_u24_e32 v72, 0x8889, v186
	v_mul_lo_u16 v73, 0x89, v73
	v_mul_lo_u16 v74, 0x89, v185
	s_delay_alu instid0(VALU_DEP_3) | instskip(NEXT) | instid1(VALU_DEP_3)
	v_lshrrev_b32_e32 v72, 20, v72
	v_lshrrev_b16 v198, 12, v73
	s_delay_alu instid0(VALU_DEP_3) | instskip(SKIP_1) | instid1(VALU_DEP_4)
	v_lshrrev_b16 v199, 12, v74
	v_mul_lo_u16 v73, v191, 30
	v_mul_lo_u16 v72, v72, 30
	s_delay_alu instid0(VALU_DEP_4) | instskip(NEXT) | instid1(VALU_DEP_4)
	v_mul_lo_u16 v74, v198, 30
	v_mul_lo_u16 v75, v199, 30
	s_delay_alu instid0(VALU_DEP_4) | instskip(NEXT) | instid1(VALU_DEP_4)
	v_sub_nc_u16 v73, v220, v73
	v_sub_nc_u16 v201, v192, v72
	s_delay_alu instid0(VALU_DEP_4) | instskip(NEXT) | instid1(VALU_DEP_4)
	v_sub_nc_u16 v74, v195, v74
	v_sub_nc_u16 v72, v194, v75
	s_delay_alu instid0(VALU_DEP_4) | instskip(NEXT) | instid1(VALU_DEP_4)
	v_and_b32_e32 v200, 0xff, v73
	v_lshlrev_b16 v77, 5, v201
	s_delay_alu instid0(VALU_DEP_4) | instskip(NEXT) | instid1(VALU_DEP_4)
	v_and_b32_e32 v202, 0xff, v74
	v_and_b32_e32 v203, 0xff, v72
	s_delay_alu instid0(VALU_DEP_4)
	v_lshlrev_b32_e32 v76, 5, v200
	s_clause 0x1
	global_load_b128 v[72:75], v76, s[2:3] offset:448
	global_load_b128 v[88:91], v76, s[2:3] offset:432
	v_and_b32_e32 v81, 0xffff, v77
	v_lshlrev_b32_e32 v80, 5, v202
	v_lshlrev_b32_e32 v82, 5, v203
	s_clause 0x1
	global_load_b128 v[76:79], v80, s[2:3] offset:448
	global_load_b128 v[92:95], v80, s[2:3] offset:432
	v_add_co_u32 v96, s0, s2, v81
	s_wait_alu 0xf1ff
	v_add_co_ci_u32_e64 v97, null, s3, 0, s0
	s_clause 0x3
	global_load_b128 v[84:87], v82, s[2:3] offset:432
	global_load_b128 v[80:83], v82, s[2:3] offset:448
	global_load_b128 v[100:103], v[96:97], off offset:432
	global_load_b128 v[96:99], v[96:97], off offset:448
	s_mov_b32 s0, 0xe8584caa
	s_mov_b32 s1, 0x3febb67a
	s_wait_alu 0xfffe
	s_mov_b32 s10, s0
	v_and_b32_e32 v228, 0xffff, v201
	global_wb scope:SCOPE_SE
	s_wait_loadcnt_dscnt 0x0
	s_barrier_signal -1
	s_barrier_wait -1
	global_inv scope:SCOPE_SE
	v_mul_f64_e32 v[154:155], v[142:143], v[74:75]
	v_mul_f64_e32 v[152:153], v[150:151], v[90:91]
	;; [unrolled: 1-line block ×16, first 2 shown]
	v_fma_f64 v[140:141], v[140:141], v[72:73], -v[154:155]
	v_fma_f64 v[148:149], v[148:149], v[88:89], -v[152:153]
	v_fma_f64 v[150:151], v[150:151], v[88:89], v[156:157]
	v_fma_f64 v[142:143], v[142:143], v[72:73], v[158:159]
	v_fma_f64 v[128:129], v[128:129], v[76:77], -v[162:163]
	v_fma_f64 v[144:145], v[144:145], v[92:93], -v[160:161]
	v_fma_f64 v[146:147], v[146:147], v[92:93], v[164:165]
	v_fma_f64 v[130:131], v[130:131], v[76:77], v[166:167]
	v_fma_f64 v[132:133], v[132:133], v[84:85], -v[168:169]
	v_fma_f64 v[136:137], v[136:137], v[80:81], -v[170:171]
	;; [unrolled: 1-line block ×4, first 2 shown]
	v_fma_f64 v[106:107], v[106:107], v[100:101], v[180:181]
	v_fma_f64 v[154:155], v[110:111], v[96:97], v[182:183]
	;; [unrolled: 1-line block ×4, first 2 shown]
	v_add_f64_e32 v[108:109], v[148:149], v[140:141]
	v_add_f64_e32 v[168:169], v[120:121], v[148:149]
	v_add_f64_e32 v[110:111], v[150:151], v[142:143]
	v_add_f64_e64 v[170:171], v[150:151], -v[142:143]
	v_add_f64_e32 v[150:151], v[122:123], v[150:151]
	v_add_f64_e64 v[148:149], v[148:149], -v[140:141]
	v_add_f64_e32 v[156:157], v[144:145], v[128:129]
	v_add_f64_e32 v[172:173], v[116:117], v[144:145]
	;; [unrolled: 1-line block ×12, first 2 shown]
	v_add_f64_e64 v[146:147], v[146:147], -v[130:131]
	v_add_f64_e64 v[144:145], v[144:145], -v[128:129]
	;; [unrolled: 1-line block ×6, first 2 shown]
	v_fma_f64 v[120:121], v[108:109], -0.5, v[120:121]
	v_add_f64_e32 v[104:105], v[168:169], v[140:141]
	v_fma_f64 v[122:123], v[110:111], -0.5, v[122:123]
	v_add_f64_e32 v[106:107], v[150:151], v[142:143]
	;; [unrolled: 2-line block ×4, first 2 shown]
	v_fma_f64 v[160:161], v[160:161], -0.5, v[124:125]
	v_fma_f64 v[164:165], v[164:165], -0.5, v[112:113]
	v_add_f64_e32 v[112:113], v[176:177], v[136:137]
	v_fma_f64 v[166:167], v[166:167], -0.5, v[114:115]
	v_add_f64_e32 v[114:115], v[178:179], v[138:139]
	;; [unrolled: 2-line block ×3, first 2 shown]
	v_add_f64_e32 v[138:139], v[182:183], v[154:155]
	v_fma_f64 v[116:117], v[170:171], s[0:1], v[120:121]
	s_wait_alu 0xfffe
	v_fma_f64 v[120:121], v[170:171], s[10:11], v[120:121]
	v_fma_f64 v[118:119], v[148:149], s[10:11], v[122:123]
	;; [unrolled: 1-line block ×15, first 2 shown]
	v_and_b32_e32 v144, 0xffff, v191
	v_and_b32_e32 v145, 0xffff, v198
	;; [unrolled: 1-line block ×3, first 2 shown]
	s_delay_alu instid0(VALU_DEP_3) | instskip(NEXT) | instid1(VALU_DEP_3)
	v_mul_u32_u24_e32 v144, 0x5a, v144
	v_mul_u32_u24_e32 v145, 0x5a, v145
	s_delay_alu instid0(VALU_DEP_3) | instskip(NEXT) | instid1(VALU_DEP_3)
	v_mul_u32_u24_e32 v146, 0x5a, v146
	v_add_lshl_u32 v229, v144, v200, 4
	s_delay_alu instid0(VALU_DEP_3) | instskip(NEXT) | instid1(VALU_DEP_3)
	v_add_lshl_u32 v227, v145, v202, 4
	v_add_lshl_u32 v226, v146, v203, 4
	ds_store_b128 v229, v[104:107]
	ds_store_b128 v229, v[116:119] offset:480
	ds_store_b128 v229, v[120:123] offset:960
	ds_store_b128 v227, v[108:111]
	ds_store_b128 v227, v[124:127] offset:480
	ds_store_b128 v227, v[128:131] offset:960
	;; [unrolled: 3-line block ×3, first 2 shown]
	s_and_saveexec_b32 s0, vcc_lo
	s_cbranch_execz .LBB0_11
; %bb.10:
	v_lshlrev_b32_e32 v104, 4, v228
	ds_store_b128 v104, v[136:139] offset:11520
	ds_store_b128 v104, v[152:155] offset:12000
	;; [unrolled: 1-line block ×3, first 2 shown]
.LBB0_11:
	s_wait_alu 0xfffe
	s_or_b32 exec_lo, exec_lo, s0
	global_wb scope:SCOPE_SE
	s_wait_dscnt 0x0
	s_barrier_signal -1
	s_barrier_wait -1
	global_inv scope:SCOPE_SE
	ds_load_b128 v[144:147], v219
	ds_load_b128 v[140:143], v219 offset:1296
	ds_load_b128 v[172:175], v219 offset:8640
	;; [unrolled: 1-line block ×8, first 2 shown]
	s_and_saveexec_b32 s0, vcc_lo
	s_cbranch_execz .LBB0_13
; %bb.12:
	ds_load_b128 v[136:139], v219 offset:3888
	ds_load_b128 v[152:155], v219 offset:8208
	;; [unrolled: 1-line block ×3, first 2 shown]
.LBB0_13:
	s_wait_alu 0xfffe
	s_or_b32 exec_lo, exec_lo, s0
	v_mul_u32_u24_e32 v104, 0x2d83, v186
	v_mul_lo_u16 v107, 0xb7, v185
	v_add_co_u32 v105, s0, v220, -9
	s_wait_alu 0xf1ff
	v_add_co_ci_u32_e64 v106, null, 0, -1, s0
	v_lshrrev_b32_e32 v104, 20, v104
	v_cmp_gt_u16_e64 s0, 9, v220
	v_lshrrev_b16 v215, 14, v107
	v_lshlrev_b32_e32 v241, 5, v220
	s_clause 0x1
	global_load_b128 v[108:111], v241, s[2:3] offset:1408
	global_load_b128 v[124:127], v241, s[2:3] offset:1392
	v_mul_lo_u16 v104, 0x5a, v104
	s_wait_alu 0xf1ff
	v_cndmask_b32_e64 v197, v106, v184, s0
	v_mul_lo_u16 v106, 0x5a, v215
	v_cndmask_b32_e64 v196, v105, v195, s0
	v_sub_nc_u16 v240, v192, v104
	s_delay_alu instid0(VALU_DEP_3) | instskip(NEXT) | instid1(VALU_DEP_3)
	v_sub_nc_u16 v106, v194, v106
	v_lshlrev_b64_e32 v[104:105], 5, v[196:197]
	s_delay_alu instid0(VALU_DEP_3) | instskip(NEXT) | instid1(VALU_DEP_3)
	v_lshlrev_b16 v107, 5, v240
	v_and_b32_e32 v242, 0xff, v106
	s_delay_alu instid0(VALU_DEP_3) | instskip(NEXT) | instid1(VALU_DEP_3)
	v_add_co_u32 v112, s0, s2, v104
	v_and_b32_e32 v116, 0xffff, v107
	s_wait_alu 0xf1ff
	v_add_co_ci_u32_e64 v113, s0, s3, v105, s0
	v_lshlrev_b32_e32 v117, 5, v242
	s_clause 0x1
	global_load_b128 v[104:107], v[112:113], off offset:1408
	global_load_b128 v[112:115], v[112:113], off offset:1392
	v_add_co_u32 v128, s0, s2, v116
	s_wait_alu 0xf1ff
	v_add_co_ci_u32_e64 v129, null, s3, 0, s0
	s_clause 0x3
	global_load_b128 v[120:123], v117, s[2:3] offset:1392
	global_load_b128 v[116:119], v117, s[2:3] offset:1408
	global_load_b128 v[132:135], v[128:129], off offset:1392
	global_load_b128 v[128:131], v[128:129], off offset:1408
	s_mov_b32 s0, 0xe8584caa
	s_mov_b32 s1, 0x3febb67a
	s_wait_alu 0xfffe
	s_mov_b32 s10, s0
	global_wb scope:SCOPE_SE
	s_wait_loadcnt_dscnt 0x0
	s_barrier_signal -1
	s_barrier_wait -1
	global_inv scope:SCOPE_SE
	v_mul_f64_e32 v[186:187], v[174:175], v[110:111]
	v_mul_f64_e32 v[184:185], v[182:183], v[126:127]
	;; [unrolled: 1-line block ×16, first 2 shown]
	v_fma_f64 v[172:173], v[172:173], v[108:109], -v[186:187]
	v_fma_f64 v[180:181], v[180:181], v[124:125], -v[184:185]
	v_fma_f64 v[182:183], v[182:183], v[124:125], v[188:189]
	v_fma_f64 v[174:175], v[174:175], v[108:109], v[190:191]
	v_fma_f64 v[160:161], v[160:161], v[104:105], -v[199:200]
	v_fma_f64 v[176:177], v[176:177], v[112:113], -v[197:198]
	v_fma_f64 v[178:179], v[178:179], v[112:113], v[201:202]
	v_fma_f64 v[162:163], v[162:163], v[104:105], v[203:204]
	v_fma_f64 v[164:165], v[164:165], v[120:121], -v[205:206]
	v_fma_f64 v[168:169], v[168:169], v[116:117], -v[207:208]
	;; [unrolled: 1-line block ×4, first 2 shown]
	v_fma_f64 v[154:155], v[154:155], v[132:133], v[232:233]
	v_fma_f64 v[158:159], v[158:159], v[128:129], v[234:235]
	v_fma_f64 v[166:167], v[166:167], v[120:121], v[209:210]
	v_fma_f64 v[170:171], v[170:171], v[116:117], v[211:212]
	v_add_f64_e32 v[184:185], v[180:181], v[172:173]
	v_add_f64_e32 v[205:206], v[144:145], v[180:181]
	;; [unrolled: 1-line block ×3, first 2 shown]
	v_add_f64_e64 v[207:208], v[182:183], -v[174:175]
	v_add_f64_e32 v[182:183], v[146:147], v[182:183]
	v_add_f64_e64 v[180:181], v[180:181], -v[172:173]
	v_add_f64_e32 v[188:189], v[176:177], v[160:161]
	v_add_f64_e32 v[209:210], v[140:141], v[176:177]
	;; [unrolled: 1-line block ×12, first 2 shown]
	v_add_f64_e64 v[178:179], v[178:179], -v[162:163]
	v_add_f64_e64 v[176:177], v[176:177], -v[160:161]
	;; [unrolled: 1-line block ×3, first 2 shown]
	v_fma_f64 v[184:185], v[184:185], -0.5, v[144:145]
	v_add_f64_e64 v[238:239], v[152:153], -v[156:157]
	v_fma_f64 v[186:187], v[186:187], -0.5, v[146:147]
	v_add_f64_e64 v[166:167], v[166:167], -v[170:171]
	v_fma_f64 v[188:189], v[188:189], -0.5, v[140:141]
	v_add_f64_e32 v[140:141], v[209:210], v[160:161]
	v_fma_f64 v[190:191], v[190:191], -0.5, v[142:143]
	v_add_f64_e32 v[142:143], v[211:212], v[162:163]
	v_fma_f64 v[148:149], v[197:198], -0.5, v[148:149]
	v_add_f64_e64 v[197:198], v[164:165], -v[168:169]
	v_fma_f64 v[201:202], v[201:202], -0.5, v[136:137]
	v_add_f64_e32 v[136:137], v[205:206], v[172:173]
	v_fma_f64 v[203:204], v[203:204], -0.5, v[138:139]
	v_add_f64_e32 v[138:139], v[182:183], v[174:175]
	;; [unrolled: 2-line block ×3, first 2 shown]
	v_add_f64_e32 v[146:147], v[230:231], v[170:171]
	v_add_f64_e32 v[168:169], v[232:233], v[156:157]
	;; [unrolled: 1-line block ×3, first 2 shown]
	v_fma_f64 v[150:151], v[207:208], s[0:1], v[184:185]
	s_wait_alu 0xfffe
	v_fma_f64 v[154:155], v[207:208], s[10:11], v[184:185]
	v_fma_f64 v[152:153], v[180:181], s[10:11], v[186:187]
	;; [unrolled: 1-line block ×3, first 2 shown]
	v_and_b32_e32 v232, 0xffff, v240
	ds_store_b128 v219, v[136:139]
	ds_store_b128 v219, v[150:153] offset:1440
	ds_store_b128 v219, v[154:157] offset:2880
	v_fma_f64 v[158:159], v[178:179], s[0:1], v[188:189]
	v_fma_f64 v[162:163], v[178:179], s[10:11], v[188:189]
	;; [unrolled: 1-line block ×12, first 2 shown]
	v_add_co_u32 v148, s0, s2, v241
	s_wait_alu 0xf1ff
	v_add_co_ci_u32_e64 v149, null, s3, 0, s0
	v_and_b32_e32 v166, 0xffff, v215
	v_cmp_lt_u16_e64 s0, 8, v220
	s_delay_alu instid0(VALU_DEP_2) | instskip(SKIP_1) | instid1(VALU_DEP_2)
	v_mul_u32_u24_e32 v166, 0x10e, v166
	s_wait_alu 0xf1ff
	v_cndmask_b32_e64 v167, 0, 0x10e, s0
	s_delay_alu instid0(VALU_DEP_2) | instskip(NEXT) | instid1(VALU_DEP_2)
	v_add_lshl_u32 v230, v166, v242, 4
	v_add_lshl_u32 v231, v196, v167, 4
	ds_store_b128 v231, v[140:143]
	ds_store_b128 v231, v[158:161] offset:1440
	ds_store_b128 v231, v[162:165] offset:2880
	ds_store_b128 v230, v[144:147]
	ds_store_b128 v230, v[172:175] offset:1440
	ds_store_b128 v230, v[176:179] offset:2880
	s_and_saveexec_b32 s0, vcc_lo
	s_cbranch_execz .LBB0_15
; %bb.14:
	v_lshlrev_b32_e32 v136, 4, v232
	ds_store_b128 v136, v[168:171] offset:8640
	ds_store_b128 v136, v[184:187] offset:10080
	ds_store_b128 v136, v[188:191] offset:11520
.LBB0_15:
	s_wait_alu 0xfffe
	s_or_b32 exec_lo, exec_lo, s0
	global_wb scope:SCOPE_SE
	s_wait_dscnt 0x0
	s_barrier_signal -1
	s_barrier_wait -1
	global_inv scope:SCOPE_SE
	ds_load_b128 v[180:183], v219
	ds_load_b128 v[176:179], v219 offset:1296
	ds_load_b128 v[152:155], v219 offset:8640
	;; [unrolled: 1-line block ×8, first 2 shown]
	s_and_saveexec_b32 s0, vcc_lo
	s_cbranch_execz .LBB0_17
; %bb.16:
	ds_load_b128 v[168:171], v219 offset:3888
	ds_load_b128 v[184:187], v219 offset:8208
	ds_load_b128 v[188:191], v219 offset:12528
.LBB0_17:
	s_wait_alu 0xfffe
	s_or_b32 exec_lo, exec_lo, s0
	s_clause 0x1
	global_load_b128 v[144:147], v[148:149], off offset:4272
	global_load_b128 v[148:151], v[148:149], off offset:4288
	s_wait_loadcnt_dscnt 0x104
	v_mul_f64_e32 v[196:197], v[158:159], v[146:147]
	s_delay_alu instid0(VALU_DEP_1) | instskip(SKIP_1) | instid1(VALU_DEP_1)
	v_fma_f64 v[196:197], v[156:157], v[144:145], -v[196:197]
	v_mul_f64_e32 v[156:157], v[156:157], v[146:147]
	v_fma_f64 v[198:199], v[158:159], v[144:145], v[156:157]
	s_wait_loadcnt 0x0
	v_mul_f64_e32 v[156:157], v[154:155], v[150:151]
	s_delay_alu instid0(VALU_DEP_1) | instskip(SKIP_2) | instid1(VALU_DEP_2)
	v_fma_f64 v[200:201], v[152:153], v[148:149], -v[156:157]
	v_mul_f64_e32 v[152:153], v[152:153], v[150:151]
	v_lshlrev_b32_e32 v156, 5, v195
	v_fma_f64 v[202:203], v[154:155], v[148:149], v[152:153]
	s_clause 0x1
	global_load_b128 v[152:155], v156, s[2:3] offset:4272
	global_load_b128 v[156:159], v156, s[2:3] offset:4288
	s_wait_loadcnt_dscnt 0x102
	v_mul_f64_e32 v[204:205], v[166:167], v[154:155]
	s_delay_alu instid0(VALU_DEP_1) | instskip(SKIP_1) | instid1(VALU_DEP_1)
	v_fma_f64 v[204:205], v[164:165], v[152:153], -v[204:205]
	v_mul_f64_e32 v[164:165], v[164:165], v[154:155]
	v_fma_f64 v[206:207], v[166:167], v[152:153], v[164:165]
	s_wait_loadcnt 0x0
	v_mul_f64_e32 v[164:165], v[162:163], v[158:159]
	s_delay_alu instid0(VALU_DEP_1) | instskip(SKIP_2) | instid1(VALU_DEP_2)
	v_fma_f64 v[208:209], v[160:161], v[156:157], -v[164:165]
	v_mul_f64_e32 v[160:161], v[160:161], v[158:159]
	v_lshlrev_b32_e32 v164, 5, v194
	v_fma_f64 v[210:211], v[162:163], v[156:157], v[160:161]
	s_clause 0x1
	global_load_b128 v[160:163], v164, s[2:3] offset:4272
	global_load_b128 v[164:167], v164, s[2:3] offset:4288
	s_wait_loadcnt_dscnt 0x101
	v_mul_f64_e32 v[194:195], v[142:143], v[162:163]
	s_delay_alu instid0(VALU_DEP_1) | instskip(SKIP_1) | instid1(VALU_DEP_1)
	v_fma_f64 v[212:213], v[140:141], v[160:161], -v[194:195]
	v_mul_f64_e32 v[140:141], v[140:141], v[162:163]
	v_fma_f64 v[214:215], v[142:143], v[160:161], v[140:141]
	s_wait_loadcnt_dscnt 0x0
	v_mul_f64_e32 v[140:141], v[138:139], v[166:167]
	s_delay_alu instid0(VALU_DEP_1) | instskip(SKIP_1) | instid1(VALU_DEP_1)
	v_fma_f64 v[233:234], v[136:137], v[164:165], -v[140:141]
	v_mul_f64_e32 v[136:137], v[136:137], v[166:167]
	v_fma_f64 v[235:236], v[138:139], v[164:165], v[136:137]
	v_add_co_u32 v136, s0, 0xffffffe5, v220
	s_wait_alu 0xf1ff
	v_add_co_ci_u32_e64 v137, null, 0, -1, s0
	s_delay_alu instid0(VALU_DEP_1) | instskip(NEXT) | instid1(VALU_DEP_1)
	v_dual_cndmask_b32 v136, v136, v192 :: v_dual_cndmask_b32 v137, v137, v193
	v_lshlrev_b64_e32 v[136:137], 5, v[136:137]
	s_delay_alu instid0(VALU_DEP_1) | instskip(SKIP_1) | instid1(VALU_DEP_2)
	v_add_co_u32 v140, s0, s2, v136
	s_wait_alu 0xf1ff
	v_add_co_ci_u32_e64 v141, s0, s3, v137, s0
	s_clause 0x1
	global_load_b128 v[136:139], v[140:141], off offset:4272
	global_load_b128 v[140:143], v[140:141], off offset:4288
	s_mov_b32 s0, 0xe8584caa
	s_mov_b32 s1, 0x3febb67a
	;; [unrolled: 1-line block ×3, first 2 shown]
	s_wait_alu 0xfffe
	s_mov_b32 s2, s0
	s_wait_loadcnt 0x1
	v_mul_f64_e32 v[192:193], v[186:187], v[138:139]
	s_delay_alu instid0(VALU_DEP_1) | instskip(SKIP_2) | instid1(VALU_DEP_2)
	v_fma_f64 v[237:238], v[184:185], v[136:137], -v[192:193]
	v_mul_f64_e32 v[184:185], v[184:185], v[138:139]
	v_add_f64_e64 v[192:193], v[196:197], -v[200:201]
	v_fma_f64 v[239:240], v[186:187], v[136:137], v[184:185]
	s_wait_loadcnt 0x0
	v_mul_f64_e32 v[184:185], v[190:191], v[142:143]
	s_delay_alu instid0(VALU_DEP_1) | instskip(SKIP_2) | instid1(VALU_DEP_2)
	v_fma_f64 v[241:242], v[188:189], v[140:141], -v[184:185]
	v_mul_f64_e32 v[184:185], v[188:189], v[142:143]
	v_add_f64_e64 v[188:189], v[198:199], -v[202:203]
	v_fma_f64 v[243:244], v[190:191], v[140:141], v[184:185]
	v_add_f64_e32 v[184:185], v[196:197], v[200:201]
	s_delay_alu instid0(VALU_DEP_1) | instskip(SKIP_2) | instid1(VALU_DEP_2)
	v_fma_f64 v[186:187], v[184:185], -0.5, v[180:181]
	v_add_f64_e32 v[184:185], v[198:199], v[202:203]
	v_add_f64_e32 v[180:181], v[180:181], v[196:197]
	v_fma_f64 v[190:191], v[184:185], -0.5, v[182:183]
	s_delay_alu instid0(VALU_DEP_4)
	v_fma_f64 v[184:185], v[188:189], s[0:1], v[186:187]
	s_wait_alu 0xfffe
	v_fma_f64 v[188:189], v[188:189], s[2:3], v[186:187]
	v_add_f64_e32 v[182:183], v[182:183], v[198:199]
	v_add_f64_e32 v[180:181], v[180:181], v[200:201]
	v_add_f64_e64 v[200:201], v[206:207], -v[210:211]
	v_fma_f64 v[186:187], v[192:193], s[2:3], v[190:191]
	v_fma_f64 v[190:191], v[192:193], s[0:1], v[190:191]
	v_add_f64_e32 v[192:193], v[204:205], v[208:209]
	v_add_f64_e32 v[182:183], v[182:183], v[202:203]
	s_delay_alu instid0(VALU_DEP_2) | instskip(SKIP_2) | instid1(VALU_DEP_3)
	v_fma_f64 v[198:199], v[192:193], -0.5, v[176:177]
	v_add_f64_e32 v[192:193], v[206:207], v[210:211]
	v_add_f64_e32 v[176:177], v[176:177], v[204:205]
	v_fma_f64 v[196:197], v[200:201], s[0:1], v[198:199]
	s_delay_alu instid0(VALU_DEP_3) | instskip(NEXT) | instid1(VALU_DEP_3)
	v_fma_f64 v[202:203], v[192:193], -0.5, v[178:179]
	v_add_f64_e32 v[192:193], v[176:177], v[208:209]
	v_add_f64_e64 v[176:177], v[204:205], -v[208:209]
	v_add_f64_e32 v[178:179], v[178:179], v[206:207]
	v_fma_f64 v[200:201], v[200:201], s[2:3], v[198:199]
	s_delay_alu instid0(VALU_DEP_3)
	v_fma_f64 v[198:199], v[176:177], s[2:3], v[202:203]
	v_fma_f64 v[202:203], v[176:177], s[0:1], v[202:203]
	v_add_f64_e32 v[176:177], v[212:213], v[233:234]
	v_add_f64_e32 v[194:195], v[178:179], v[210:211]
	;; [unrolled: 1-line block ×3, first 2 shown]
	v_add_f64_e64 v[210:211], v[214:215], -v[235:236]
	s_delay_alu instid0(VALU_DEP_4) | instskip(SKIP_1) | instid1(VALU_DEP_4)
	v_fma_f64 v[176:177], v[176:177], -0.5, v[172:173]
	v_add_f64_e32 v[172:173], v[172:173], v[212:213]
	v_fma_f64 v[178:179], v[178:179], -0.5, v[174:175]
	v_add_f64_e32 v[174:175], v[174:175], v[214:215]
	s_delay_alu instid0(VALU_DEP_4) | instskip(NEXT) | instid1(VALU_DEP_4)
	v_fma_f64 v[208:209], v[210:211], s[0:1], v[176:177]
	v_add_f64_e32 v[204:205], v[172:173], v[233:234]
	v_add_f64_e64 v[172:173], v[212:213], -v[233:234]
	v_fma_f64 v[212:213], v[210:211], s[2:3], v[176:177]
	v_add_f64_e32 v[206:207], v[174:175], v[235:236]
	v_add_f64_e64 v[176:177], v[239:240], -v[243:244]
	v_add_f64_e64 v[233:234], v[237:238], -v[241:242]
	v_fma_f64 v[210:211], v[172:173], s[2:3], v[178:179]
	v_fma_f64 v[214:215], v[172:173], s[0:1], v[178:179]
	v_add_f64_e32 v[172:173], v[237:238], v[241:242]
	ds_store_b128 v219, v[180:183]
	ds_store_b128 v219, v[192:195] offset:1296
	ds_store_b128 v219, v[188:191] offset:8640
	;; [unrolled: 1-line block ×8, first 2 shown]
	v_fma_f64 v[174:175], v[172:173], -0.5, v[168:169]
	v_add_f64_e32 v[172:173], v[239:240], v[243:244]
	v_add_f64_e32 v[168:169], v[168:169], v[237:238]
	s_delay_alu instid0(VALU_DEP_2) | instskip(SKIP_1) | instid1(VALU_DEP_3)
	v_fma_f64 v[178:179], v[172:173], -0.5, v[170:171]
	v_add_f64_e32 v[170:171], v[170:171], v[239:240]
	v_add_f64_e32 v[168:169], v[168:169], v[241:242]
	v_fma_f64 v[172:173], v[176:177], s[0:1], v[174:175]
	v_fma_f64 v[176:177], v[176:177], s[2:3], v[174:175]
	;; [unrolled: 1-line block ×3, first 2 shown]
	v_add_f64_e32 v[170:171], v[170:171], v[243:244]
	v_fma_f64 v[178:179], v[233:234], s[0:1], v[178:179]
	s_and_saveexec_b32 s0, vcc_lo
	s_cbranch_execz .LBB0_19
; %bb.18:
	ds_store_b128 v219, v[168:171] offset:3888
	ds_store_b128 v219, v[172:175] offset:8208
	;; [unrolled: 1-line block ×3, first 2 shown]
.LBB0_19:
	s_wait_alu 0xfffe
	s_or_b32 exec_lo, exec_lo, s0
	global_wb scope:SCOPE_SE
	s_wait_dscnt 0x0
	s_barrier_signal -1
	s_barrier_wait -1
	global_inv scope:SCOPE_SE
	global_load_b128 v[180:183], v[217:218], off offset:12960
	s_add_nc_u64 s[0:1], s[16:17], 0x32a0
	s_clause 0x1
	global_load_b128 v[184:187], v219, s[0:1] offset:4320
	global_load_b128 v[188:191], v219, s[0:1] offset:8640
	ds_load_b128 v[192:195], v219
	ds_load_b128 v[196:199], v219 offset:1296
	ds_load_b128 v[200:203], v219 offset:4320
	;; [unrolled: 1-line block ×3, first 2 shown]
	global_load_b128 v[208:211], v219, s[0:1] offset:2592
	s_wait_loadcnt_dscnt 0x303
	v_mul_f64_e32 v[212:213], v[194:195], v[182:183]
	v_mul_f64_e32 v[182:183], v[192:193], v[182:183]
	s_wait_loadcnt_dscnt 0x201
	v_mul_f64_e32 v[214:215], v[202:203], v[186:187]
	v_mul_f64_e32 v[186:187], v[200:201], v[186:187]
	s_delay_alu instid0(VALU_DEP_4) | instskip(NEXT) | instid1(VALU_DEP_4)
	v_fma_f64 v[192:193], v[192:193], v[180:181], -v[212:213]
	v_fma_f64 v[194:195], v[194:195], v[180:181], v[182:183]
	ds_load_b128 v[180:183], v219 offset:8640
	v_fma_f64 v[200:201], v[200:201], v[184:185], -v[214:215]
	v_fma_f64 v[202:203], v[202:203], v[184:185], v[186:187]
	ds_load_b128 v[184:187], v219 offset:9936
	global_load_b128 v[212:215], v219, s[0:1] offset:9936
	s_wait_loadcnt_dscnt 0x201
	v_mul_f64_e32 v[233:234], v[182:183], v[190:191]
	v_mul_f64_e32 v[190:191], v[180:181], v[190:191]
	s_delay_alu instid0(VALU_DEP_2) | instskip(NEXT) | instid1(VALU_DEP_2)
	v_fma_f64 v[180:181], v[180:181], v[188:189], -v[233:234]
	v_fma_f64 v[182:183], v[182:183], v[188:189], v[190:191]
	global_load_b128 v[188:191], v219, s[0:1] offset:1296
	ds_load_b128 v[233:236], v219 offset:11232
	s_wait_loadcnt 0x0
	v_mul_f64_e32 v[237:238], v[198:199], v[190:191]
	v_mul_f64_e32 v[190:191], v[196:197], v[190:191]
	s_delay_alu instid0(VALU_DEP_2) | instskip(NEXT) | instid1(VALU_DEP_2)
	v_fma_f64 v[196:197], v[196:197], v[188:189], -v[237:238]
	v_fma_f64 v[198:199], v[198:199], v[188:189], v[190:191]
	s_clause 0x1
	global_load_b128 v[188:191], v219, s[0:1] offset:5616
	global_load_b128 v[237:240], v219, s[0:1] offset:6912
	ds_load_b128 v[241:244], v219 offset:5616
	ds_load_b128 v[245:248], v219 offset:6912
	s_wait_loadcnt_dscnt 0x101
	v_mul_f64_e32 v[249:250], v[243:244], v[190:191]
	v_mul_f64_e32 v[190:191], v[241:242], v[190:191]
	s_delay_alu instid0(VALU_DEP_2) | instskip(NEXT) | instid1(VALU_DEP_2)
	v_fma_f64 v[241:242], v[241:242], v[188:189], -v[249:250]
	v_fma_f64 v[243:244], v[243:244], v[188:189], v[190:191]
	v_mul_f64_e32 v[188:189], v[186:187], v[214:215]
	v_mul_f64_e32 v[190:191], v[184:185], v[214:215]
	s_delay_alu instid0(VALU_DEP_2) | instskip(NEXT) | instid1(VALU_DEP_2)
	v_fma_f64 v[184:185], v[184:185], v[212:213], -v[188:189]
	v_fma_f64 v[186:187], v[186:187], v[212:213], v[190:191]
	;; [unrolled: 5-line block ×3, first 2 shown]
	global_load_b128 v[208:211], v219, s[0:1] offset:11232
	s_wait_loadcnt_dscnt 0x100
	v_mul_f64_e32 v[204:205], v[247:248], v[239:240]
	v_mul_f64_e32 v[206:207], v[245:246], v[239:240]
	s_delay_alu instid0(VALU_DEP_2) | instskip(NEXT) | instid1(VALU_DEP_2)
	v_fma_f64 v[204:205], v[245:246], v[237:238], -v[204:205]
	v_fma_f64 v[206:207], v[247:248], v[237:238], v[206:207]
	s_wait_loadcnt 0x0
	v_mul_f64_e32 v[212:213], v[235:236], v[210:211]
	v_mul_f64_e32 v[214:215], v[233:234], v[210:211]
	s_delay_alu instid0(VALU_DEP_2) | instskip(NEXT) | instid1(VALU_DEP_2)
	v_fma_f64 v[210:211], v[233:234], v[208:209], -v[212:213]
	v_fma_f64 v[212:213], v[235:236], v[208:209], v[214:215]
	ds_store_b128 v219, v[192:195]
	ds_store_b128 v219, v[196:199] offset:1296
	ds_store_b128 v219, v[180:183] offset:8640
	;; [unrolled: 1-line block ×8, first 2 shown]
	s_and_saveexec_b32 s2, vcc_lo
	s_cbranch_execz .LBB0_21
; %bb.20:
	s_wait_alu 0xfffe
	v_add_co_u32 v188, s0, s0, v219
	s_wait_alu 0xf1ff
	v_add_co_ci_u32_e64 v189, null, s1, 0, s0
	s_clause 0x2
	global_load_b128 v[180:183], v[188:189], off offset:3888
	global_load_b128 v[184:187], v[188:189], off offset:8208
	;; [unrolled: 1-line block ×3, first 2 shown]
	ds_load_b128 v[192:195], v219 offset:3888
	ds_load_b128 v[196:199], v219 offset:8208
	;; [unrolled: 1-line block ×3, first 2 shown]
	s_wait_loadcnt_dscnt 0x202
	v_mul_f64_e32 v[204:205], v[194:195], v[182:183]
	v_mul_f64_e32 v[182:183], v[192:193], v[182:183]
	s_wait_loadcnt_dscnt 0x101
	v_mul_f64_e32 v[206:207], v[198:199], v[186:187]
	v_mul_f64_e32 v[186:187], v[196:197], v[186:187]
	;; [unrolled: 3-line block ×3, first 2 shown]
	v_fma_f64 v[190:191], v[192:193], v[180:181], -v[204:205]
	v_fma_f64 v[192:193], v[194:195], v[180:181], v[182:183]
	v_fma_f64 v[180:181], v[196:197], v[184:185], -v[206:207]
	v_fma_f64 v[182:183], v[198:199], v[184:185], v[186:187]
	;; [unrolled: 2-line block ×3, first 2 shown]
	ds_store_b128 v219, v[190:193] offset:3888
	ds_store_b128 v219, v[180:183] offset:8208
	;; [unrolled: 1-line block ×3, first 2 shown]
.LBB0_21:
	s_wait_alu 0xfffe
	s_or_b32 exec_lo, exec_lo, s2
	global_wb scope:SCOPE_SE
	s_wait_dscnt 0x0
	s_barrier_signal -1
	s_barrier_wait -1
	global_inv scope:SCOPE_SE
	ds_load_b128 v[188:191], v219
	ds_load_b128 v[180:183], v219 offset:1296
	ds_load_b128 v[208:211], v219 offset:8640
	;; [unrolled: 1-line block ×8, first 2 shown]
	s_and_saveexec_b32 s0, vcc_lo
	s_cbranch_execz .LBB0_23
; %bb.22:
	ds_load_b128 v[168:171], v219 offset:3888
	ds_load_b128 v[172:175], v219 offset:8208
	;; [unrolled: 1-line block ×3, first 2 shown]
.LBB0_23:
	s_wait_alu 0xfffe
	s_or_b32 exec_lo, exec_lo, s0
	s_wait_dscnt 0x4
	v_add_f64_e32 v[233:234], v[188:189], v[212:213]
	v_add_f64_e32 v[235:236], v[190:191], v[214:215]
	;; [unrolled: 1-line block ×4, first 2 shown]
	v_add_f64_e64 v[214:215], v[214:215], -v[210:211]
	v_add_f64_e64 v[212:213], v[212:213], -v[208:209]
	s_wait_dscnt 0x2
	v_add_f64_e32 v[241:242], v[204:205], v[200:201]
	v_add_f64_e32 v[243:244], v[206:207], v[202:203]
	s_wait_dscnt 0x0
	v_add_f64_e32 v[245:246], v[196:197], v[192:193]
	v_add_f64_e32 v[247:248], v[198:199], v[194:195]
	v_add_f64_e64 v[249:250], v[198:199], -v[194:195]
	v_add_f64_e64 v[251:252], v[196:197], -v[192:193]
	s_mov_b32 s0, 0xe8584caa
	s_mov_b32 s1, 0xbfebb67a
	;; [unrolled: 1-line block ×3, first 2 shown]
	s_wait_alu 0xfffe
	s_mov_b32 s2, s0
	global_wb scope:SCOPE_SE
	s_barrier_signal -1
	s_barrier_wait -1
	global_inv scope:SCOPE_SE
	v_add_f64_e32 v[208:209], v[233:234], v[208:209]
	v_add_f64_e32 v[210:211], v[235:236], v[210:211]
	v_add_f64_e32 v[233:234], v[180:181], v[204:205]
	v_add_f64_e32 v[235:236], v[182:183], v[206:207]
	v_add_f64_e64 v[206:207], v[206:207], -v[202:203]
	v_add_f64_e64 v[204:205], v[204:205], -v[200:201]
	v_fma_f64 v[180:181], v[241:242], -0.5, v[180:181]
	v_fma_f64 v[182:183], v[243:244], -0.5, v[182:183]
	v_add_f64_e32 v[200:201], v[233:234], v[200:201]
	v_add_f64_e32 v[202:203], v[235:236], v[202:203]
	;; [unrolled: 1-line block ×4, first 2 shown]
	v_fma_f64 v[196:197], v[237:238], -0.5, v[188:189]
	v_fma_f64 v[198:199], v[239:240], -0.5, v[190:191]
	;; [unrolled: 1-line block ×4, first 2 shown]
	v_add_f64_e32 v[192:193], v[233:234], v[192:193]
	v_add_f64_e32 v[194:195], v[235:236], v[194:195]
	v_fma_f64 v[188:189], v[214:215], s[0:1], v[196:197]
	s_wait_alu 0xfffe
	v_fma_f64 v[190:191], v[212:213], s[2:3], v[198:199]
	v_fma_f64 v[196:197], v[214:215], s[2:3], v[196:197]
	v_fma_f64 v[198:199], v[212:213], s[0:1], v[198:199]
	v_add_f64_e32 v[212:213], v[172:173], v[176:177]
	ds_store_b128 v224, v[208:211]
	ds_store_b128 v224, v[188:191] offset:16
	ds_store_b128 v224, v[196:199] offset:32
	v_fma_f64 v[188:189], v[206:207], s[0:1], v[180:181]
	v_fma_f64 v[196:197], v[206:207], s[2:3], v[180:181]
	v_add_f64_e32 v[180:181], v[174:175], v[178:179]
	v_fma_f64 v[190:191], v[204:205], s[2:3], v[182:183]
	v_fma_f64 v[198:199], v[204:205], s[0:1], v[182:183]
	;; [unrolled: 1-line block ×6, first 2 shown]
	v_add_f64_e64 v[182:183], v[174:175], -v[178:179]
	v_fma_f64 v[184:185], v[212:213], -0.5, v[168:169]
	v_add_f64_e64 v[212:213], v[172:173], -v[176:177]
	ds_store_b128 v223, v[200:203]
	ds_store_b128 v223, v[188:191] offset:16
	ds_store_b128 v223, v[196:199] offset:32
	ds_store_b128 v222, v[192:195]
	ds_store_b128 v222, v[204:207] offset:16
	ds_store_b128 v222, v[208:211] offset:32
	v_fma_f64 v[186:187], v[180:181], -0.5, v[170:171]
	v_fma_f64 v[180:181], v[182:183], s[0:1], v[184:185]
	v_fma_f64 v[184:185], v[182:183], s[2:3], v[184:185]
	s_delay_alu instid0(VALU_DEP_3)
	v_fma_f64 v[182:183], v[212:213], s[2:3], v[186:187]
	v_fma_f64 v[186:187], v[212:213], s[0:1], v[186:187]
	s_and_saveexec_b32 s0, vcc_lo
	s_cbranch_execz .LBB0_25
; %bb.24:
	v_add_f64_e32 v[170:171], v[170:171], v[174:175]
	v_add_f64_e32 v[168:169], v[168:169], v[172:173]
	v_lshlrev_b32_e32 v172, 4, v221
	s_delay_alu instid0(VALU_DEP_3) | instskip(NEXT) | instid1(VALU_DEP_3)
	v_add_f64_e32 v[170:171], v[170:171], v[178:179]
	v_add_f64_e32 v[168:169], v[168:169], v[176:177]
	ds_store_b128 v172, v[168:171]
	ds_store_b128 v172, v[180:183] offset:16
	ds_store_b128 v172, v[184:187] offset:32
.LBB0_25:
	s_wait_alu 0xfffe
	s_or_b32 exec_lo, exec_lo, s0
	global_wb scope:SCOPE_SE
	s_wait_dscnt 0x0
	s_barrier_signal -1
	s_barrier_wait -1
	global_inv scope:SCOPE_SE
	ds_load_b128 v[168:171], v219 offset:3888
	ds_load_b128 v[172:175], v219 offset:6480
	;; [unrolled: 1-line block ×6, first 2 shown]
	s_mov_b32 s10, 0x134454ff
	s_mov_b32 s11, 0xbfee6f0e
	;; [unrolled: 1-line block ×3, first 2 shown]
	s_wait_alu 0xfffe
	s_mov_b32 s0, s10
	s_mov_b32 s14, 0x4755a5e
	;; [unrolled: 1-line block ×4, first 2 shown]
	s_wait_alu 0xfffe
	s_mov_b32 s2, s14
	s_mov_b32 s12, 0x372fe950
	;; [unrolled: 1-line block ×6, first 2 shown]
	s_wait_alu 0xfffe
	s_mov_b32 s18, s12
	s_mov_b32 s21, 0xbfe9e377
	s_wait_dscnt 0x5
	v_mul_f64_e32 v[200:201], v[58:59], v[168:169]
	s_wait_dscnt 0x4
	v_mul_f64_e32 v[202:203], v[66:67], v[172:173]
	;; [unrolled: 2-line block ×5, first 2 shown]
	v_mul_f64_e32 v[58:59], v[58:59], v[170:171]
	v_mul_f64_e32 v[66:67], v[66:67], v[174:175]
	;; [unrolled: 1-line block ×4, first 2 shown]
	s_wait_dscnt 0x0
	v_mul_f64_e32 v[214:215], v[54:55], v[198:199]
	v_mul_f64_e32 v[54:55], v[54:55], v[196:197]
	;; [unrolled: 1-line block ×3, first 2 shown]
	s_mov_b32 s20, s16
	v_fma_f64 v[170:171], v[56:57], v[170:171], -v[200:201]
	v_fma_f64 v[174:175], v[64:65], v[174:175], -v[202:203]
	;; [unrolled: 1-line block ×4, first 2 shown]
	ds_load_b128 v[200:203], v219 offset:5184
	ds_load_b128 v[204:207], v219 offset:7776
	;; [unrolled: 1-line block ×3, first 2 shown]
	v_fma_f64 v[56:57], v[56:57], v[168:169], v[58:59]
	v_fma_f64 v[58:59], v[64:65], v[172:173], v[66:67]
	;; [unrolled: 1-line block ×4, first 2 shown]
	v_fma_f64 v[64:65], v[36:37], v[194:195], -v[212:213]
	v_fma_f64 v[70:71], v[52:53], v[196:197], v[214:215]
	v_fma_f64 v[52:53], v[52:53], v[198:199], -v[54:55]
	s_wait_dscnt 0x2
	v_mul_f64_e32 v[221:222], v[50:51], v[202:203]
	v_mul_f64_e32 v[50:51], v[50:51], v[200:201]
	s_wait_dscnt 0x1
	v_mul_f64_e32 v[223:224], v[46:47], v[206:207]
	s_wait_dscnt 0x0
	v_mul_f64_e32 v[233:234], v[42:43], v[210:211]
	v_mul_f64_e32 v[46:47], v[46:47], v[204:205]
	;; [unrolled: 1-line block ×3, first 2 shown]
	v_add_f64_e32 v[66:67], v[174:175], v[178:179]
	v_add_f64_e32 v[68:69], v[170:171], v[190:191]
	v_add_f64_e64 v[237:238], v[56:57], -v[58:59]
	v_add_f64_e64 v[188:189], v[58:59], -v[60:61]
	v_add_f64_e32 v[172:173], v[56:57], v[62:63]
	v_add_f64_e64 v[176:177], v[56:57], -v[62:63]
	v_add_f64_e64 v[239:240], v[62:63], -v[60:61]
	;; [unrolled: 1-line block ×3, first 2 shown]
	v_fma_f64 v[54:55], v[48:49], v[200:201], v[221:222]
	v_fma_f64 v[48:49], v[48:49], v[202:203], -v[50:51]
	v_fma_f64 v[50:51], v[44:45], v[204:205], v[223:224]
	v_fma_f64 v[168:169], v[40:41], v[208:209], v[233:234]
	v_fma_f64 v[44:45], v[44:45], v[206:207], -v[46:47]
	v_fma_f64 v[40:41], v[40:41], v[210:211], -v[42:43]
	v_fma_f64 v[42:43], v[36:37], v[192:193], v[38:39]
	v_add_f64_e32 v[46:47], v[58:59], v[60:61]
	v_add_f64_e64 v[200:201], v[170:171], -v[190:191]
	v_add_f64_e64 v[202:203], v[170:171], -v[174:175]
	;; [unrolled: 1-line block ×6, first 2 shown]
	ds_load_b128 v[36:39], v219
	global_wb scope:SCOPE_SE
	s_wait_dscnt 0x0
	s_barrier_signal -1
	s_barrier_wait -1
	v_fma_f64 v[66:67], v[66:67], -0.5, v[64:65]
	v_fma_f64 v[68:69], v[68:69], -0.5, v[64:65]
	v_add_f64_e32 v[64:65], v[64:65], v[170:171]
	global_inv scope:SCOPE_SE
	v_add_f64_e32 v[221:222], v[36:37], v[70:71]
	v_add_f64_e32 v[235:236], v[38:39], v[52:53]
	v_add_f64_e64 v[243:244], v[52:53], -v[48:49]
	v_add_f64_e32 v[192:193], v[54:55], v[50:51]
	v_add_f64_e32 v[194:195], v[70:71], v[168:169]
	;; [unrolled: 1-line block ×4, first 2 shown]
	v_fma_f64 v[172:173], v[172:173], -0.5, v[42:43]
	v_fma_f64 v[46:47], v[46:47], -0.5, v[42:43]
	v_add_f64_e32 v[42:43], v[42:43], v[56:57]
	v_add_f64_e64 v[223:224], v[52:53], -v[40:41]
	v_add_f64_e64 v[233:234], v[48:49], -v[44:45]
	;; [unrolled: 1-line block ×6, first 2 shown]
	v_fma_f64 v[212:213], v[176:177], s[0:1], v[66:67]
	v_fma_f64 v[214:215], v[188:189], s[10:11], v[68:69]
	;; [unrolled: 1-line block ×4, first 2 shown]
	v_add_f64_e32 v[64:65], v[64:65], v[174:175]
	v_add_f64_e32 v[48:49], v[235:236], v[48:49]
	v_fma_f64 v[170:171], v[192:193], -0.5, v[36:37]
	v_add_f64_e64 v[192:193], v[70:71], -v[168:169]
	v_fma_f64 v[36:37], v[194:195], -0.5, v[36:37]
	v_add_f64_e64 v[194:195], v[54:55], -v[50:51]
	v_fma_f64 v[196:197], v[196:197], -0.5, v[38:39]
	v_fma_f64 v[38:39], v[198:199], -0.5, v[38:39]
	v_add_f64_e32 v[198:199], v[202:203], v[204:205]
	v_add_f64_e32 v[202:203], v[206:207], v[208:209]
	v_fma_f64 v[204:205], v[200:201], s[10:11], v[46:47]
	v_fma_f64 v[46:47], v[200:201], s[0:1], v[46:47]
	;; [unrolled: 1-line block ×4, first 2 shown]
	v_add_f64_e32 v[42:43], v[42:43], v[58:59]
	v_add_f64_e32 v[58:59], v[237:238], v[239:240]
	;; [unrolled: 1-line block ×4, first 2 shown]
	v_fma_f64 v[208:209], v[188:189], s[2:3], v[212:213]
	v_fma_f64 v[212:213], v[176:177], s[2:3], v[214:215]
	;; [unrolled: 1-line block ×4, first 2 shown]
	v_add_f64_e64 v[176:177], v[70:71], -v[54:55]
	v_add_f64_e64 v[70:71], v[54:55], -v[70:71]
	v_add_f64_e32 v[54:55], v[221:222], v[54:55]
	v_add_f64_e64 v[188:189], v[168:169], -v[50:51]
	v_add_f64_e64 v[214:215], v[50:51], -v[168:169]
	v_add_f64_e32 v[44:45], v[48:49], v[44:45]
	v_add_f64_e32 v[48:49], v[64:65], v[178:179]
	v_fma_f64 v[174:175], v[223:224], s[10:11], v[170:171]
	v_fma_f64 v[170:171], v[223:224], s[0:1], v[170:171]
	;; [unrolled: 1-line block ×12, first 2 shown]
	v_add_f64_e32 v[42:43], v[42:43], v[60:61]
	v_fma_f64 v[200:201], v[198:199], s[12:13], v[208:209]
	v_fma_f64 v[208:209], v[202:203], s[12:13], v[212:213]
	;; [unrolled: 1-line block ×4, first 2 shown]
	v_add_f64_e32 v[50:51], v[54:55], v[50:51]
	v_add_f64_e32 v[176:177], v[176:177], v[188:189]
	;; [unrolled: 1-line block ×5, first 2 shown]
	v_fma_f64 v[54:55], v[233:234], s[14:15], v[174:175]
	v_fma_f64 v[60:61], v[233:234], s[2:3], v[170:171]
	;; [unrolled: 1-line block ×12, first 2 shown]
	v_mul_f64_e32 v[172:173], s[14:15], v[200:201]
	v_mul_f64_e32 v[200:201], s[16:17], v[200:201]
	;; [unrolled: 1-line block ×5, first 2 shown]
	s_wait_alu 0xfffe
	v_mul_f64_e32 v[68:69], s[18:19], v[68:69]
	v_mul_f64_e32 v[198:199], s[14:15], v[66:67]
	;; [unrolled: 1-line block ×3, first 2 shown]
	v_add_f64_e32 v[50:51], v[50:51], v[168:169]
	v_add_f64_e32 v[168:169], v[44:45], v[40:41]
	;; [unrolled: 1-line block ×3, first 2 shown]
	v_fma_f64 v[190:191], v[176:177], s[12:13], v[54:55]
	v_fma_f64 v[176:177], v[176:177], s[12:13], v[60:61]
	;; [unrolled: 1-line block ×16, first 2 shown]
	v_add_f64_e32 v[42:43], v[168:169], v[48:49]
	v_add_f64_e32 v[40:41], v[50:51], v[44:45]
	v_add_f64_e64 v[44:45], v[50:51], -v[44:45]
	v_add_f64_e64 v[46:47], v[168:169], -v[48:49]
	v_add_f64_e32 v[48:49], v[190:191], v[64:65]
	v_add_f64_e32 v[50:51], v[70:71], v[192:193]
	;; [unrolled: 1-line block ×8, first 2 shown]
	v_add_f64_e64 v[64:65], v[190:191], -v[64:65]
	v_add_f64_e64 v[66:67], v[70:71], -v[192:193]
	;; [unrolled: 1-line block ×8, first 2 shown]
	ds_store_b128 v225, v[40:43]
	ds_store_b128 v225, v[48:51] offset:48
	ds_store_b128 v225, v[52:55] offset:96
	;; [unrolled: 1-line block ×9, first 2 shown]
	global_wb scope:SCOPE_SE
	s_wait_dscnt 0x0
	s_barrier_signal -1
	s_barrier_wait -1
	global_inv scope:SCOPE_SE
	ds_load_b128 v[44:47], v219
	ds_load_b128 v[40:43], v219 offset:1296
	ds_load_b128 v[64:67], v219 offset:8640
	;; [unrolled: 1-line block ×8, first 2 shown]
	s_and_saveexec_b32 s0, vcc_lo
	s_cbranch_execz .LBB0_27
; %bb.26:
	ds_load_b128 v[36:39], v219 offset:3888
	ds_load_b128 v[180:183], v219 offset:8208
	;; [unrolled: 1-line block ×3, first 2 shown]
.LBB0_27:
	s_wait_alu 0xfffe
	s_or_b32 exec_lo, exec_lo, s0
	s_wait_dscnt 0x4
	v_mul_f64_e32 v[172:173], v[90:91], v[170:171]
	v_mul_f64_e32 v[174:175], v[74:75], v[66:67]
	;; [unrolled: 1-line block ×6, first 2 shown]
	s_wait_dscnt 0x1
	v_mul_f64_e32 v[188:189], v[86:87], v[58:59]
	s_wait_dscnt 0x0
	v_mul_f64_e32 v[190:191], v[82:83], v[62:63]
	v_mul_f64_e32 v[86:87], v[86:87], v[56:57]
	v_mul_f64_e32 v[82:83], v[82:83], v[60:61]
	v_mul_f64_e32 v[192:193], v[102:103], v[182:183]
	v_mul_f64_e32 v[194:195], v[98:99], v[186:187]
	v_mul_f64_e32 v[102:103], v[102:103], v[180:181]
	v_mul_f64_e32 v[98:99], v[98:99], v[184:185]
	v_mul_f64_e32 v[176:177], v[94:95], v[70:71]
	v_mul_f64_e32 v[94:95], v[94:95], v[68:69]
	s_mov_b32 s0, 0xe8584caa
	s_mov_b32 s1, 0xbfebb67a
	;; [unrolled: 1-line block ×3, first 2 shown]
	s_wait_alu 0xfffe
	s_mov_b32 s2, s0
	global_wb scope:SCOPE_SE
	s_barrier_signal -1
	s_barrier_wait -1
	global_inv scope:SCOPE_SE
	v_fma_f64 v[168:169], v[88:89], v[168:169], v[172:173]
	v_fma_f64 v[64:65], v[72:73], v[64:65], v[174:175]
	v_fma_f64 v[88:89], v[88:89], v[170:171], -v[90:91]
	v_fma_f64 v[66:67], v[72:73], v[66:67], -v[74:75]
	v_fma_f64 v[52:53], v[76:77], v[52:53], v[178:179]
	v_fma_f64 v[54:55], v[76:77], v[54:55], -v[78:79]
	v_fma_f64 v[56:57], v[84:85], v[56:57], v[188:189]
	v_fma_f64 v[60:61], v[80:81], v[60:61], v[190:191]
	v_fma_f64 v[58:59], v[84:85], v[58:59], -v[86:87]
	v_fma_f64 v[62:63], v[80:81], v[62:63], -v[82:83]
	v_fma_f64 v[72:73], v[100:101], v[180:181], v[192:193]
	v_fma_f64 v[74:75], v[96:97], v[184:185], v[194:195]
	v_fma_f64 v[76:77], v[100:101], v[182:183], -v[102:103]
	v_fma_f64 v[78:79], v[96:97], v[186:187], -v[98:99]
	v_fma_f64 v[68:69], v[92:93], v[68:69], v[176:177]
	v_fma_f64 v[70:71], v[92:93], v[70:71], -v[94:95]
	v_add_f64_e32 v[98:99], v[44:45], v[168:169]
	v_add_f64_e32 v[80:81], v[168:169], v[64:65]
	v_add_f64_e64 v[168:169], v[168:169], -v[64:65]
	v_add_f64_e32 v[82:83], v[88:89], v[66:67]
	v_add_f64_e64 v[100:101], v[88:89], -v[66:67]
	v_add_f64_e32 v[88:89], v[46:47], v[88:89]
	v_add_f64_e32 v[172:173], v[48:49], v[56:57]
	;; [unrolled: 1-line block ×13, first 2 shown]
	v_add_f64_e64 v[58:59], v[58:59], -v[62:63]
	v_add_f64_e64 v[56:57], v[56:57], -v[60:61]
	;; [unrolled: 1-line block ×6, first 2 shown]
	v_fma_f64 v[80:81], v[80:81], -0.5, v[44:45]
	v_fma_f64 v[82:83], v[82:83], -0.5, v[46:47]
	;; [unrolled: 1-line block ×3, first 2 shown]
	v_add_f64_e32 v[48:49], v[172:173], v[60:61]
	v_fma_f64 v[92:93], v[92:93], -0.5, v[50:51]
	v_add_f64_e32 v[50:51], v[174:175], v[62:63]
	v_fma_f64 v[94:95], v[94:95], -0.5, v[36:37]
	;; [unrolled: 2-line block ×3, first 2 shown]
	v_fma_f64 v[84:85], v[84:85], -0.5, v[40:41]
	v_fma_f64 v[86:87], v[86:87], -0.5, v[42:43]
	v_add_f64_e32 v[40:41], v[98:99], v[64:65]
	v_add_f64_e32 v[42:43], v[88:89], v[66:67]
	;; [unrolled: 1-line block ×5, first 2 shown]
	v_fma_f64 v[60:61], v[100:101], s[0:1], v[80:81]
	s_wait_alu 0xfffe
	v_fma_f64 v[64:65], v[100:101], s[2:3], v[80:81]
	v_fma_f64 v[62:63], v[168:169], s[2:3], v[82:83]
	;; [unrolled: 1-line block ×15, first 2 shown]
	ds_store_b128 v229, v[40:43]
	ds_store_b128 v229, v[60:63] offset:480
	ds_store_b128 v229, v[64:67] offset:960
	ds_store_b128 v227, v[44:47]
	ds_store_b128 v227, v[68:71] offset:480
	ds_store_b128 v227, v[72:75] offset:960
	;; [unrolled: 3-line block ×3, first 2 shown]
	s_and_saveexec_b32 s0, vcc_lo
	s_cbranch_execz .LBB0_29
; %bb.28:
	v_lshlrev_b32_e32 v40, 4, v228
	ds_store_b128 v40, v[36:39] offset:11520
	ds_store_b128 v40, v[52:55] offset:12000
	;; [unrolled: 1-line block ×3, first 2 shown]
.LBB0_29:
	s_wait_alu 0xfffe
	s_or_b32 exec_lo, exec_lo, s0
	global_wb scope:SCOPE_SE
	s_wait_dscnt 0x0
	s_barrier_signal -1
	s_barrier_wait -1
	global_inv scope:SCOPE_SE
	ds_load_b128 v[44:47], v219
	ds_load_b128 v[40:43], v219 offset:1296
	ds_load_b128 v[72:75], v219 offset:8640
	;; [unrolled: 1-line block ×8, first 2 shown]
	s_and_saveexec_b32 s0, vcc_lo
	s_cbranch_execz .LBB0_31
; %bb.30:
	ds_load_b128 v[36:39], v219 offset:3888
	ds_load_b128 v[52:55], v219 offset:8208
	;; [unrolled: 1-line block ×3, first 2 shown]
.LBB0_31:
	s_wait_alu 0xfffe
	s_or_b32 exec_lo, exec_lo, s0
	s_wait_dscnt 0x4
	v_mul_f64_e32 v[84:85], v[126:127], v[82:83]
	v_mul_f64_e32 v[86:87], v[110:111], v[74:75]
	;; [unrolled: 1-line block ×4, first 2 shown]
	s_wait_dscnt 0x2
	v_mul_f64_e32 v[92:93], v[114:115], v[78:79]
	v_mul_f64_e32 v[94:95], v[106:107], v[62:63]
	;; [unrolled: 1-line block ×4, first 2 shown]
	s_wait_dscnt 0x1
	v_mul_f64_e32 v[100:101], v[122:123], v[66:67]
	s_wait_dscnt 0x0
	v_mul_f64_e32 v[102:103], v[118:119], v[70:71]
	v_mul_f64_e32 v[106:107], v[122:123], v[64:65]
	;; [unrolled: 1-line block ×7, first 2 shown]
	s_mov_b32 s0, 0xe8584caa
	s_mov_b32 s1, 0xbfebb67a
	s_wait_alu 0xfffe
	s_mov_b32 s2, s0
	global_wb scope:SCOPE_SE
	s_barrier_signal -1
	s_barrier_wait -1
	global_inv scope:SCOPE_SE
	v_fma_f64 v[80:81], v[124:125], v[80:81], v[84:85]
	v_fma_f64 v[72:73], v[108:109], v[72:73], v[86:87]
	v_fma_f64 v[82:83], v[124:125], v[82:83], -v[88:89]
	v_fma_f64 v[74:75], v[108:109], v[74:75], -v[90:91]
	v_fma_f64 v[76:77], v[112:113], v[76:77], v[92:93]
	v_fma_f64 v[60:61], v[104:105], v[60:61], v[94:95]
	v_fma_f64 v[78:79], v[112:113], v[78:79], -v[96:97]
	v_fma_f64 v[62:63], v[104:105], v[62:63], -v[98:99]
	;; [unrolled: 4-line block ×4, first 2 shown]
	v_add_f64_e32 v[100:101], v[44:45], v[80:81]
	v_add_f64_e32 v[56:57], v[80:81], v[72:73]
	v_add_f64_e64 v[80:81], v[80:81], -v[72:73]
	v_add_f64_e32 v[58:59], v[82:83], v[74:75]
	v_add_f64_e64 v[102:103], v[82:83], -v[74:75]
	v_add_f64_e32 v[88:89], v[76:77], v[60:61]
	v_add_f64_e32 v[82:83], v[46:47], v[82:83]
	;; [unrolled: 1-line block ×13, first 2 shown]
	v_add_f64_e64 v[78:79], v[78:79], -v[62:63]
	v_add_f64_e64 v[76:77], v[76:77], -v[60:61]
	;; [unrolled: 1-line block ×4, first 2 shown]
	v_fma_f64 v[44:45], v[56:57], -0.5, v[44:45]
	v_fma_f64 v[46:47], v[58:59], -0.5, v[46:47]
	;; [unrolled: 1-line block ×3, first 2 shown]
	v_add_f64_e64 v[88:89], v[66:67], -v[70:71]
	v_fma_f64 v[42:43], v[90:91], -0.5, v[42:43]
	v_add_f64_e32 v[52:53], v[104:105], v[60:61]
	v_fma_f64 v[90:91], v[92:93], -0.5, v[48:49]
	v_add_f64_e64 v[92:93], v[64:65], -v[68:69]
	v_fma_f64 v[94:95], v[94:95], -0.5, v[50:51]
	v_add_f64_e32 v[48:49], v[100:101], v[72:73]
	v_fma_f64 v[96:97], v[96:97], -0.5, v[36:37]
	v_add_f64_e32 v[50:51], v[82:83], v[74:75]
	v_fma_f64 v[98:99], v[98:99], -0.5, v[38:39]
	v_add_f64_e32 v[54:55], v[106:107], v[62:63]
	v_add_f64_e32 v[56:57], v[108:109], v[68:69]
	v_add_f64_e32 v[58:59], v[110:111], v[70:71]
	;; [unrolled: 1-line block ×4, first 2 shown]
	v_fma_f64 v[60:61], v[102:103], s[0:1], v[44:45]
	s_wait_alu 0xfffe
	v_fma_f64 v[64:65], v[102:103], s[2:3], v[44:45]
	v_fma_f64 v[62:63], v[80:81], s[2:3], v[46:47]
	;; [unrolled: 1-line block ×15, first 2 shown]
	ds_store_b128 v219, v[48:51]
	ds_store_b128 v219, v[60:63] offset:1440
	ds_store_b128 v219, v[64:67] offset:2880
	ds_store_b128 v231, v[52:55]
	ds_store_b128 v231, v[68:71] offset:1440
	ds_store_b128 v231, v[72:75] offset:2880
	;; [unrolled: 3-line block ×3, first 2 shown]
	s_and_saveexec_b32 s0, vcc_lo
	s_cbranch_execz .LBB0_33
; %bb.32:
	v_lshlrev_b32_e32 v48, 4, v232
	ds_store_b128 v48, v[36:39] offset:8640
	ds_store_b128 v48, v[40:43] offset:10080
	;; [unrolled: 1-line block ×3, first 2 shown]
.LBB0_33:
	s_wait_alu 0xfffe
	s_or_b32 exec_lo, exec_lo, s0
	global_wb scope:SCOPE_SE
	s_wait_dscnt 0x0
	s_barrier_signal -1
	s_barrier_wait -1
	global_inv scope:SCOPE_SE
	ds_load_b128 v[56:59], v219
	ds_load_b128 v[48:51], v219 offset:1296
	ds_load_b128 v[72:75], v219 offset:8640
	;; [unrolled: 1-line block ×8, first 2 shown]
	s_and_saveexec_b32 s0, vcc_lo
	s_cbranch_execz .LBB0_35
; %bb.34:
	ds_load_b128 v[36:39], v219 offset:3888
	ds_load_b128 v[40:43], v219 offset:8208
	;; [unrolled: 1-line block ×3, first 2 shown]
.LBB0_35:
	s_wait_alu 0xfffe
	s_or_b32 exec_lo, exec_lo, s0
	s_wait_dscnt 0x4
	v_mul_f64_e32 v[84:85], v[146:147], v[82:83]
	v_mul_f64_e32 v[86:87], v[150:151], v[74:75]
	;; [unrolled: 1-line block ×4, first 2 shown]
	s_wait_dscnt 0x2
	v_mul_f64_e32 v[92:93], v[154:155], v[78:79]
	v_mul_f64_e32 v[94:95], v[158:159], v[62:63]
	;; [unrolled: 1-line block ×4, first 2 shown]
	s_wait_dscnt 0x1
	v_mul_f64_e32 v[100:101], v[162:163], v[66:67]
	s_wait_dscnt 0x0
	v_mul_f64_e32 v[102:103], v[166:167], v[70:71]
	v_mul_f64_e32 v[104:105], v[162:163], v[64:65]
	v_mul_f64_e32 v[106:107], v[166:167], v[68:69]
	s_mov_b32 s0, 0xe8584caa
	s_mov_b32 s1, 0xbfebb67a
	s_wait_alu 0xfffe
	s_mov_b32 s2, s0
	v_fma_f64 v[80:81], v[144:145], v[80:81], v[84:85]
	v_fma_f64 v[72:73], v[148:149], v[72:73], v[86:87]
	v_fma_f64 v[82:83], v[144:145], v[82:83], -v[88:89]
	v_fma_f64 v[74:75], v[148:149], v[74:75], -v[90:91]
	v_fma_f64 v[76:77], v[152:153], v[76:77], v[92:93]
	v_fma_f64 v[60:61], v[156:157], v[60:61], v[94:95]
	v_fma_f64 v[78:79], v[152:153], v[78:79], -v[96:97]
	v_fma_f64 v[62:63], v[156:157], v[62:63], -v[98:99]
	;; [unrolled: 4-line block ×3, first 2 shown]
	v_add_f64_e32 v[96:97], v[56:57], v[80:81]
	v_add_f64_e32 v[84:85], v[80:81], v[72:73]
	v_add_f64_e64 v[80:81], v[80:81], -v[72:73]
	v_add_f64_e32 v[86:87], v[82:83], v[74:75]
	v_add_f64_e64 v[98:99], v[82:83], -v[74:75]
	v_add_f64_e32 v[88:89], v[76:77], v[60:61]
	v_add_f64_e32 v[82:83], v[58:59], v[82:83]
	;; [unrolled: 1-line block ×7, first 2 shown]
	v_add_f64_e64 v[78:79], v[78:79], -v[62:63]
	v_add_f64_e64 v[76:77], v[76:77], -v[60:61]
	v_add_f64_e32 v[104:105], v[52:53], v[64:65]
	v_add_f64_e32 v[106:107], v[54:55], v[66:67]
	v_add_f64_e64 v[108:109], v[66:67], -v[70:71]
	v_add_f64_e64 v[110:111], v[64:65], -v[68:69]
	v_fma_f64 v[84:85], v[84:85], -0.5, v[56:57]
	v_fma_f64 v[86:87], v[86:87], -0.5, v[58:59]
	;; [unrolled: 1-line block ×3, first 2 shown]
	v_add_f64_e32 v[48:49], v[96:97], v[72:73]
	v_fma_f64 v[90:91], v[90:91], -0.5, v[50:51]
	v_add_f64_e32 v[50:51], v[82:83], v[74:75]
	v_fma_f64 v[92:93], v[92:93], -0.5, v[52:53]
	;; [unrolled: 2-line block ×3, first 2 shown]
	v_add_f64_e32 v[54:55], v[102:103], v[62:63]
	v_add_f64_e32 v[56:57], v[104:105], v[68:69]
	;; [unrolled: 1-line block ×3, first 2 shown]
	s_wait_alu 0xfffe
	v_fma_f64 v[64:65], v[98:99], s[2:3], v[84:85]
	v_fma_f64 v[60:61], v[98:99], s[0:1], v[84:85]
	;; [unrolled: 1-line block ×12, first 2 shown]
	ds_store_b128 v219, v[48:51]
	ds_store_b128 v219, v[52:55] offset:1296
	ds_store_b128 v219, v[64:67] offset:8640
	;; [unrolled: 1-line block ×8, first 2 shown]
	s_and_saveexec_b32 s10, vcc_lo
	s_cbranch_execz .LBB0_37
; %bb.36:
	v_mul_f64_e32 v[48:49], v[138:139], v[40:41]
	v_mul_f64_e32 v[50:51], v[142:143], v[44:45]
	;; [unrolled: 1-line block ×4, first 2 shown]
	s_delay_alu instid0(VALU_DEP_4) | instskip(NEXT) | instid1(VALU_DEP_4)
	v_fma_f64 v[42:43], v[136:137], v[42:43], -v[48:49]
	v_fma_f64 v[46:47], v[140:141], v[46:47], -v[50:51]
	s_delay_alu instid0(VALU_DEP_4) | instskip(NEXT) | instid1(VALU_DEP_4)
	v_fma_f64 v[40:41], v[136:137], v[40:41], v[52:53]
	v_fma_f64 v[44:45], v[140:141], v[44:45], v[54:55]
	s_delay_alu instid0(VALU_DEP_4) | instskip(NEXT) | instid1(VALU_DEP_4)
	v_add_f64_e32 v[54:55], v[38:39], v[42:43]
	v_add_f64_e32 v[48:49], v[42:43], v[46:47]
	v_add_f64_e64 v[56:57], v[42:43], -v[46:47]
	s_delay_alu instid0(VALU_DEP_4)
	v_add_f64_e32 v[50:51], v[40:41], v[44:45]
	v_add_f64_e64 v[52:53], v[40:41], -v[44:45]
	v_add_f64_e32 v[40:41], v[36:37], v[40:41]
	v_fma_f64 v[48:49], v[48:49], -0.5, v[38:39]
	v_add_f64_e32 v[38:39], v[54:55], v[46:47]
	v_fma_f64 v[50:51], v[50:51], -0.5, v[36:37]
	s_delay_alu instid0(VALU_DEP_4) | instskip(NEXT) | instid1(VALU_DEP_4)
	v_add_f64_e32 v[36:37], v[40:41], v[44:45]
	v_fma_f64 v[46:47], v[52:53], s[2:3], v[48:49]
	v_fma_f64 v[42:43], v[52:53], s[0:1], v[48:49]
	s_delay_alu instid0(VALU_DEP_4)
	v_fma_f64 v[44:45], v[56:57], s[0:1], v[50:51]
	v_fma_f64 v[40:41], v[56:57], s[2:3], v[50:51]
	ds_store_b128 v219, v[36:39] offset:3888
	ds_store_b128 v219, v[44:47] offset:8208
	;; [unrolled: 1-line block ×3, first 2 shown]
.LBB0_37:
	s_wait_alu 0xfffe
	s_or_b32 exec_lo, exec_lo, s10
	global_wb scope:SCOPE_SE
	s_wait_dscnt 0x0
	s_barrier_signal -1
	s_barrier_wait -1
	global_inv scope:SCOPE_SE
	ds_load_b128 v[36:39], v219
	ds_load_b128 v[40:43], v219 offset:4320
	ds_load_b128 v[44:47], v219 offset:8640
	ds_load_b128 v[48:51], v219 offset:1296
	ds_load_b128 v[52:55], v219 offset:5616
	ds_load_b128 v[56:59], v219 offset:9936
	ds_load_b128 v[60:63], v219 offset:2592
	ds_load_b128 v[64:67], v219 offset:6912
	ds_load_b128 v[68:71], v219 offset:11232
	v_mad_co_u64_u32 v[72:73], null, s6, v216, 0
	v_mad_co_u64_u32 v[74:75], null, s4, v220, 0
	s_mov_b32 s2, 0x30abee4d
	s_mov_b32 s3, 0x3f543a27
	s_movk_i32 s10, 0xfe35
	s_mov_b32 s11, -1
	s_delay_alu instid0(VALU_DEP_1)
	v_mad_co_u64_u32 v[94:95], null, s7, v216, v[73:74]
	s_wait_dscnt 0x8
	v_mul_f64_e32 v[76:77], v[2:3], v[38:39]
	v_mul_f64_e32 v[2:3], v[2:3], v[36:37]
	s_wait_dscnt 0x7
	v_mul_f64_e32 v[78:79], v[22:23], v[42:43]
	v_mul_f64_e32 v[22:23], v[22:23], v[40:41]
	;; [unrolled: 3-line block ×9, first 2 shown]
	v_mov_b32_e32 v73, v94
	s_mul_u64 s[6:7], s[4:5], 0x10e
	s_wait_alu 0xfffe
	s_lshl_b64 s[6:7], s[6:7], 4
	s_delay_alu instid0(VALU_DEP_1)
	v_lshlrev_b64_e32 v[72:73], 4, v[72:73]
	v_fma_f64 v[36:37], v[0:1], v[36:37], v[76:77]
	v_fma_f64 v[0:1], v[0:1], v[38:39], -v[2:3]
	v_fma_f64 v[38:39], v[20:21], v[40:41], v[78:79]
	v_fma_f64 v[20:21], v[20:21], v[42:43], -v[22:23]
	;; [unrolled: 2-line block ×9, first 2 shown]
	v_mad_co_u64_u32 v[95:96], null, s5, v220, v[75:76]
	v_add_co_u32 v4, s0, s8, v72
	s_wait_alu 0xf1ff
	v_add_co_ci_u32_e64 v5, s0, s9, v73, s0
	s_mul_u64 s[4:5], s[4:5], s[10:11]
	s_delay_alu instid0(VALU_DEP_3) | instskip(SKIP_2) | instid1(VALU_DEP_1)
	v_mov_b32_e32 v75, v95
	s_wait_alu 0xfffe
	s_lshl_b64 s[4:5], s[4:5], 4
	v_lshlrev_b64_e32 v[2:3], 4, v[74:75]
	s_delay_alu instid0(VALU_DEP_1) | instskip(SKIP_1) | instid1(VALU_DEP_2)
	v_add_co_u32 v62, s0, v4, v2
	s_wait_alu 0xf1ff
	v_add_co_ci_u32_e64 v63, s0, v5, v3, s0
	v_mul_f64_e32 v[2:3], s[2:3], v[36:37]
	s_delay_alu instid0(VALU_DEP_3) | instskip(SKIP_1) | instid1(VALU_DEP_3)
	v_add_co_u32 v64, s0, v62, s6
	s_wait_alu 0xf1ff
	v_add_co_ci_u32_e64 v65, s0, s7, v63, s0
	v_mul_f64_e32 v[4:5], s[2:3], v[0:1]
	s_delay_alu instid0(VALU_DEP_3)
	v_add_co_u32 v66, s0, v64, s6
	v_mul_f64_e32 v[6:7], s[2:3], v[38:39]
	v_mul_f64_e32 v[8:9], s[2:3], v[20:21]
	;; [unrolled: 1-line block ×4, first 2 shown]
	s_wait_alu 0xf1ff
	v_add_co_ci_u32_e64 v67, s0, s7, v65, s0
	v_mul_f64_e32 v[14:15], s[2:3], v[14:15]
	v_mul_f64_e32 v[16:17], s[2:3], v[40:41]
	;; [unrolled: 1-line block ×8, first 2 shown]
	s_wait_alu 0xfffe
	v_add_co_u32 v38, s0, v66, s4
	v_mul_f64_e32 v[30:31], s[2:3], v[54:55]
	v_mul_f64_e32 v[32:33], s[2:3], v[56:57]
	;; [unrolled: 1-line block ×4, first 2 shown]
	s_wait_alu 0xf1ff
	v_add_co_ci_u32_e64 v39, s0, s5, v67, s0
	v_add_co_u32 v40, s0, v38, s6
	s_wait_alu 0xf1ff
	s_delay_alu instid0(VALU_DEP_2) | instskip(NEXT) | instid1(VALU_DEP_2)
	v_add_co_ci_u32_e64 v41, s0, s7, v39, s0
	v_add_co_u32 v42, s0, v40, s6
	s_wait_alu 0xf1ff
	s_delay_alu instid0(VALU_DEP_2) | instskip(NEXT) | instid1(VALU_DEP_2)
	;; [unrolled: 4-line block ×4, first 2 shown]
	v_add_co_ci_u32_e64 v47, s0, s7, v45, s0
	v_add_co_u32 v0, s0, v46, s6
	s_wait_alu 0xf1ff
	s_delay_alu instid0(VALU_DEP_2)
	v_add_co_ci_u32_e64 v1, s0, s7, v47, s0
	s_clause 0x4
	global_store_b128 v[62:63], v[2:5], off
	global_store_b128 v[64:65], v[6:9], off
	;; [unrolled: 1-line block ×9, first 2 shown]
	s_and_b32 exec_lo, exec_lo, vcc_lo
	s_cbranch_execz .LBB0_39
; %bb.38:
	s_clause 0x2
	global_load_b128 v[2:5], v[217:218], off offset:3888
	global_load_b128 v[6:9], v[217:218], off offset:8208
	;; [unrolled: 1-line block ×3, first 2 shown]
	ds_load_b128 v[14:17], v219 offset:3888
	ds_load_b128 v[18:21], v219 offset:8208
	;; [unrolled: 1-line block ×3, first 2 shown]
	v_add_co_u32 v0, vcc_lo, v0, s4
	s_wait_alu 0xfffd
	v_add_co_ci_u32_e32 v1, vcc_lo, s5, v1, vcc_lo
	s_wait_loadcnt_dscnt 0x202
	v_mul_f64_e32 v[26:27], v[16:17], v[4:5]
	v_mul_f64_e32 v[4:5], v[14:15], v[4:5]
	s_wait_loadcnt_dscnt 0x101
	v_mul_f64_e32 v[28:29], v[20:21], v[8:9]
	v_mul_f64_e32 v[8:9], v[18:19], v[8:9]
	s_wait_loadcnt_dscnt 0x0
	v_mul_f64_e32 v[30:31], v[24:25], v[12:13]
	v_mul_f64_e32 v[12:13], v[22:23], v[12:13]
	v_fma_f64 v[14:15], v[14:15], v[2:3], v[26:27]
	v_fma_f64 v[4:5], v[2:3], v[16:17], -v[4:5]
	v_fma_f64 v[16:17], v[18:19], v[6:7], v[28:29]
	v_fma_f64 v[8:9], v[6:7], v[20:21], -v[8:9]
	v_fma_f64 v[18:19], v[22:23], v[10:11], v[30:31]
	v_fma_f64 v[12:13], v[10:11], v[24:25], -v[12:13]
	v_mul_f64_e32 v[2:3], s[2:3], v[14:15]
	v_mul_f64_e32 v[4:5], s[2:3], v[4:5]
	;; [unrolled: 1-line block ×6, first 2 shown]
	v_add_co_u32 v14, vcc_lo, v0, s6
	s_wait_alu 0xfffd
	v_add_co_ci_u32_e32 v15, vcc_lo, s7, v1, vcc_lo
	s_delay_alu instid0(VALU_DEP_2) | instskip(SKIP_1) | instid1(VALU_DEP_2)
	v_add_co_u32 v16, vcc_lo, v14, s6
	s_wait_alu 0xfffd
	v_add_co_ci_u32_e32 v17, vcc_lo, s7, v15, vcc_lo
	global_store_b128 v[0:1], v[2:5], off
	global_store_b128 v[14:15], v[6:9], off
	;; [unrolled: 1-line block ×3, first 2 shown]
.LBB0_39:
	s_nop 0
	s_sendmsg sendmsg(MSG_DEALLOC_VGPRS)
	s_endpgm
	.section	.rodata,"a",@progbits
	.p2align	6, 0x0
	.amdhsa_kernel bluestein_single_fwd_len810_dim1_dp_op_CI_CI
		.amdhsa_group_segment_fixed_size 12960
		.amdhsa_private_segment_fixed_size 0
		.amdhsa_kernarg_size 104
		.amdhsa_user_sgpr_count 2
		.amdhsa_user_sgpr_dispatch_ptr 0
		.amdhsa_user_sgpr_queue_ptr 0
		.amdhsa_user_sgpr_kernarg_segment_ptr 1
		.amdhsa_user_sgpr_dispatch_id 0
		.amdhsa_user_sgpr_private_segment_size 0
		.amdhsa_wavefront_size32 1
		.amdhsa_uses_dynamic_stack 0
		.amdhsa_enable_private_segment 0
		.amdhsa_system_sgpr_workgroup_id_x 1
		.amdhsa_system_sgpr_workgroup_id_y 0
		.amdhsa_system_sgpr_workgroup_id_z 0
		.amdhsa_system_sgpr_workgroup_info 0
		.amdhsa_system_vgpr_workitem_id 0
		.amdhsa_next_free_vgpr 253
		.amdhsa_next_free_sgpr 22
		.amdhsa_reserve_vcc 1
		.amdhsa_float_round_mode_32 0
		.amdhsa_float_round_mode_16_64 0
		.amdhsa_float_denorm_mode_32 3
		.amdhsa_float_denorm_mode_16_64 3
		.amdhsa_fp16_overflow 0
		.amdhsa_workgroup_processor_mode 1
		.amdhsa_memory_ordered 1
		.amdhsa_forward_progress 0
		.amdhsa_round_robin_scheduling 0
		.amdhsa_exception_fp_ieee_invalid_op 0
		.amdhsa_exception_fp_denorm_src 0
		.amdhsa_exception_fp_ieee_div_zero 0
		.amdhsa_exception_fp_ieee_overflow 0
		.amdhsa_exception_fp_ieee_underflow 0
		.amdhsa_exception_fp_ieee_inexact 0
		.amdhsa_exception_int_div_zero 0
	.end_amdhsa_kernel
	.text
.Lfunc_end0:
	.size	bluestein_single_fwd_len810_dim1_dp_op_CI_CI, .Lfunc_end0-bluestein_single_fwd_len810_dim1_dp_op_CI_CI
                                        ; -- End function
	.section	.AMDGPU.csdata,"",@progbits
; Kernel info:
; codeLenInByte = 14512
; NumSgprs: 24
; NumVgprs: 253
; ScratchSize: 0
; MemoryBound: 0
; FloatMode: 240
; IeeeMode: 1
; LDSByteSize: 12960 bytes/workgroup (compile time only)
; SGPRBlocks: 2
; VGPRBlocks: 31
; NumSGPRsForWavesPerEU: 24
; NumVGPRsForWavesPerEU: 253
; Occupancy: 5
; WaveLimiterHint : 1
; COMPUTE_PGM_RSRC2:SCRATCH_EN: 0
; COMPUTE_PGM_RSRC2:USER_SGPR: 2
; COMPUTE_PGM_RSRC2:TRAP_HANDLER: 0
; COMPUTE_PGM_RSRC2:TGID_X_EN: 1
; COMPUTE_PGM_RSRC2:TGID_Y_EN: 0
; COMPUTE_PGM_RSRC2:TGID_Z_EN: 0
; COMPUTE_PGM_RSRC2:TIDIG_COMP_CNT: 0
	.text
	.p2alignl 7, 3214868480
	.fill 96, 4, 3214868480
	.type	__hip_cuid_b6b5dd06e71c3ae3,@object ; @__hip_cuid_b6b5dd06e71c3ae3
	.section	.bss,"aw",@nobits
	.globl	__hip_cuid_b6b5dd06e71c3ae3
__hip_cuid_b6b5dd06e71c3ae3:
	.byte	0                               ; 0x0
	.size	__hip_cuid_b6b5dd06e71c3ae3, 1

	.ident	"AMD clang version 19.0.0git (https://github.com/RadeonOpenCompute/llvm-project roc-6.4.0 25133 c7fe45cf4b819c5991fe208aaa96edf142730f1d)"
	.section	".note.GNU-stack","",@progbits
	.addrsig
	.addrsig_sym __hip_cuid_b6b5dd06e71c3ae3
	.amdgpu_metadata
---
amdhsa.kernels:
  - .args:
      - .actual_access:  read_only
        .address_space:  global
        .offset:         0
        .size:           8
        .value_kind:     global_buffer
      - .actual_access:  read_only
        .address_space:  global
        .offset:         8
        .size:           8
        .value_kind:     global_buffer
      - .actual_access:  read_only
        .address_space:  global
        .offset:         16
        .size:           8
        .value_kind:     global_buffer
      - .actual_access:  read_only
        .address_space:  global
        .offset:         24
        .size:           8
        .value_kind:     global_buffer
      - .actual_access:  read_only
        .address_space:  global
        .offset:         32
        .size:           8
        .value_kind:     global_buffer
      - .offset:         40
        .size:           8
        .value_kind:     by_value
      - .address_space:  global
        .offset:         48
        .size:           8
        .value_kind:     global_buffer
      - .address_space:  global
        .offset:         56
        .size:           8
        .value_kind:     global_buffer
      - .address_space:  global
        .offset:         64
        .size:           8
        .value_kind:     global_buffer
      - .address_space:  global
        .offset:         72
        .size:           8
        .value_kind:     global_buffer
      - .offset:         80
        .size:           4
        .value_kind:     by_value
      - .address_space:  global
        .offset:         88
        .size:           8
        .value_kind:     global_buffer
      - .address_space:  global
        .offset:         96
        .size:           8
        .value_kind:     global_buffer
    .group_segment_fixed_size: 12960
    .kernarg_segment_align: 8
    .kernarg_segment_size: 104
    .language:       OpenCL C
    .language_version:
      - 2
      - 0
    .max_flat_workgroup_size: 81
    .name:           bluestein_single_fwd_len810_dim1_dp_op_CI_CI
    .private_segment_fixed_size: 0
    .sgpr_count:     24
    .sgpr_spill_count: 0
    .symbol:         bluestein_single_fwd_len810_dim1_dp_op_CI_CI.kd
    .uniform_work_group_size: 1
    .uses_dynamic_stack: false
    .vgpr_count:     253
    .vgpr_spill_count: 0
    .wavefront_size: 32
    .workgroup_processor_mode: 1
amdhsa.target:   amdgcn-amd-amdhsa--gfx1201
amdhsa.version:
  - 1
  - 2
...

	.end_amdgpu_metadata
